;; amdgpu-corpus repo=ROCm/rocFFT kind=compiled arch=gfx1100 opt=O3
	.text
	.amdgcn_target "amdgcn-amd-amdhsa--gfx1100"
	.amdhsa_code_object_version 6
	.protected	fft_rtc_back_len2025_factors_3_3_5_5_3_3_wgs_135_tpt_135_halfLds_sp_ip_CI_sbrr_dirReg ; -- Begin function fft_rtc_back_len2025_factors_3_3_5_5_3_3_wgs_135_tpt_135_halfLds_sp_ip_CI_sbrr_dirReg
	.globl	fft_rtc_back_len2025_factors_3_3_5_5_3_3_wgs_135_tpt_135_halfLds_sp_ip_CI_sbrr_dirReg
	.p2align	8
	.type	fft_rtc_back_len2025_factors_3_3_5_5_3_3_wgs_135_tpt_135_halfLds_sp_ip_CI_sbrr_dirReg,@function
fft_rtc_back_len2025_factors_3_3_5_5_3_3_wgs_135_tpt_135_halfLds_sp_ip_CI_sbrr_dirReg: ; @fft_rtc_back_len2025_factors_3_3_5_5_3_3_wgs_135_tpt_135_halfLds_sp_ip_CI_sbrr_dirReg
; %bb.0:
	s_clause 0x2
	s_load_b64 s[12:13], s[0:1], 0x18
	s_load_b128 s[4:7], s[0:1], 0x0
	s_load_b64 s[10:11], s[0:1], 0x50
	v_mul_u32_u24_e32 v1, 0x1e6, v0
	v_mov_b32_e32 v3, 0
	v_mov_b32_e32 v4, 0
	s_delay_alu instid0(VALU_DEP_3) | instskip(SKIP_1) | instid1(VALU_DEP_1)
	v_lshrrev_b32_e32 v2, 16, v1
	v_mov_b32_e32 v1, 0
	v_dual_mov_b32 v6, v1 :: v_dual_add_nc_u32 v5, s15, v2
	s_waitcnt lgkmcnt(0)
	s_load_b64 s[8:9], s[12:13], 0x0
	v_cmp_lt_u64_e64 s2, s[6:7], 2
	s_delay_alu instid0(VALU_DEP_1)
	s_and_b32 vcc_lo, exec_lo, s2
	s_cbranch_vccnz .LBB0_8
; %bb.1:
	s_load_b64 s[2:3], s[0:1], 0x10
	v_mov_b32_e32 v3, 0
	s_add_u32 s14, s12, 8
	v_mov_b32_e32 v4, 0
	s_addc_u32 s15, s13, 0
	s_mov_b64 s[18:19], 1
	s_waitcnt lgkmcnt(0)
	s_add_u32 s16, s2, 8
	s_addc_u32 s17, s3, 0
.LBB0_2:                                ; =>This Inner Loop Header: Depth=1
	s_load_b64 s[20:21], s[16:17], 0x0
                                        ; implicit-def: $vgpr7_vgpr8
	s_mov_b32 s2, exec_lo
	s_waitcnt lgkmcnt(0)
	v_or_b32_e32 v2, s21, v6
	s_delay_alu instid0(VALU_DEP_1)
	v_cmpx_ne_u64_e32 0, v[1:2]
	s_xor_b32 s3, exec_lo, s2
	s_cbranch_execz .LBB0_4
; %bb.3:                                ;   in Loop: Header=BB0_2 Depth=1
	v_cvt_f32_u32_e32 v2, s20
	v_cvt_f32_u32_e32 v7, s21
	s_sub_u32 s2, 0, s20
	s_subb_u32 s22, 0, s21
	s_delay_alu instid0(VALU_DEP_1) | instskip(NEXT) | instid1(VALU_DEP_1)
	v_fmac_f32_e32 v2, 0x4f800000, v7
	v_rcp_f32_e32 v2, v2
	s_waitcnt_depctr 0xfff
	v_mul_f32_e32 v2, 0x5f7ffffc, v2
	s_delay_alu instid0(VALU_DEP_1) | instskip(NEXT) | instid1(VALU_DEP_1)
	v_mul_f32_e32 v7, 0x2f800000, v2
	v_trunc_f32_e32 v7, v7
	s_delay_alu instid0(VALU_DEP_1) | instskip(SKIP_1) | instid1(VALU_DEP_2)
	v_fmac_f32_e32 v2, 0xcf800000, v7
	v_cvt_u32_f32_e32 v7, v7
	v_cvt_u32_f32_e32 v2, v2
	s_delay_alu instid0(VALU_DEP_2) | instskip(NEXT) | instid1(VALU_DEP_2)
	v_mul_lo_u32 v8, s2, v7
	v_mul_hi_u32 v9, s2, v2
	v_mul_lo_u32 v10, s22, v2
	s_delay_alu instid0(VALU_DEP_2) | instskip(SKIP_1) | instid1(VALU_DEP_2)
	v_add_nc_u32_e32 v8, v9, v8
	v_mul_lo_u32 v9, s2, v2
	v_add_nc_u32_e32 v8, v8, v10
	s_delay_alu instid0(VALU_DEP_2) | instskip(NEXT) | instid1(VALU_DEP_2)
	v_mul_hi_u32 v10, v2, v9
	v_mul_lo_u32 v11, v2, v8
	v_mul_hi_u32 v12, v2, v8
	v_mul_hi_u32 v13, v7, v9
	v_mul_lo_u32 v9, v7, v9
	v_mul_hi_u32 v14, v7, v8
	v_mul_lo_u32 v8, v7, v8
	v_add_co_u32 v10, vcc_lo, v10, v11
	v_add_co_ci_u32_e32 v11, vcc_lo, 0, v12, vcc_lo
	s_delay_alu instid0(VALU_DEP_2) | instskip(NEXT) | instid1(VALU_DEP_2)
	v_add_co_u32 v9, vcc_lo, v10, v9
	v_add_co_ci_u32_e32 v9, vcc_lo, v11, v13, vcc_lo
	v_add_co_ci_u32_e32 v10, vcc_lo, 0, v14, vcc_lo
	s_delay_alu instid0(VALU_DEP_2) | instskip(NEXT) | instid1(VALU_DEP_2)
	v_add_co_u32 v8, vcc_lo, v9, v8
	v_add_co_ci_u32_e32 v9, vcc_lo, 0, v10, vcc_lo
	s_delay_alu instid0(VALU_DEP_2) | instskip(NEXT) | instid1(VALU_DEP_2)
	v_add_co_u32 v2, vcc_lo, v2, v8
	v_add_co_ci_u32_e32 v7, vcc_lo, v7, v9, vcc_lo
	s_delay_alu instid0(VALU_DEP_2) | instskip(SKIP_1) | instid1(VALU_DEP_3)
	v_mul_hi_u32 v8, s2, v2
	v_mul_lo_u32 v10, s22, v2
	v_mul_lo_u32 v9, s2, v7
	s_delay_alu instid0(VALU_DEP_1) | instskip(SKIP_1) | instid1(VALU_DEP_2)
	v_add_nc_u32_e32 v8, v8, v9
	v_mul_lo_u32 v9, s2, v2
	v_add_nc_u32_e32 v8, v8, v10
	s_delay_alu instid0(VALU_DEP_2) | instskip(NEXT) | instid1(VALU_DEP_2)
	v_mul_hi_u32 v10, v2, v9
	v_mul_lo_u32 v11, v2, v8
	v_mul_hi_u32 v12, v2, v8
	v_mul_hi_u32 v13, v7, v9
	v_mul_lo_u32 v9, v7, v9
	v_mul_hi_u32 v14, v7, v8
	v_mul_lo_u32 v8, v7, v8
	v_add_co_u32 v10, vcc_lo, v10, v11
	v_add_co_ci_u32_e32 v11, vcc_lo, 0, v12, vcc_lo
	s_delay_alu instid0(VALU_DEP_2) | instskip(NEXT) | instid1(VALU_DEP_2)
	v_add_co_u32 v9, vcc_lo, v10, v9
	v_add_co_ci_u32_e32 v9, vcc_lo, v11, v13, vcc_lo
	v_add_co_ci_u32_e32 v10, vcc_lo, 0, v14, vcc_lo
	s_delay_alu instid0(VALU_DEP_2) | instskip(NEXT) | instid1(VALU_DEP_2)
	v_add_co_u32 v8, vcc_lo, v9, v8
	v_add_co_ci_u32_e32 v9, vcc_lo, 0, v10, vcc_lo
	s_delay_alu instid0(VALU_DEP_2) | instskip(NEXT) | instid1(VALU_DEP_2)
	v_add_co_u32 v2, vcc_lo, v2, v8
	v_add_co_ci_u32_e32 v13, vcc_lo, v7, v9, vcc_lo
	s_delay_alu instid0(VALU_DEP_2) | instskip(SKIP_1) | instid1(VALU_DEP_3)
	v_mul_hi_u32 v14, v5, v2
	v_mad_u64_u32 v[9:10], null, v6, v2, 0
	v_mad_u64_u32 v[7:8], null, v5, v13, 0
	;; [unrolled: 1-line block ×3, first 2 shown]
	s_delay_alu instid0(VALU_DEP_2) | instskip(NEXT) | instid1(VALU_DEP_3)
	v_add_co_u32 v2, vcc_lo, v14, v7
	v_add_co_ci_u32_e32 v7, vcc_lo, 0, v8, vcc_lo
	s_delay_alu instid0(VALU_DEP_2) | instskip(NEXT) | instid1(VALU_DEP_2)
	v_add_co_u32 v2, vcc_lo, v2, v9
	v_add_co_ci_u32_e32 v2, vcc_lo, v7, v10, vcc_lo
	v_add_co_ci_u32_e32 v7, vcc_lo, 0, v12, vcc_lo
	s_delay_alu instid0(VALU_DEP_2) | instskip(NEXT) | instid1(VALU_DEP_2)
	v_add_co_u32 v2, vcc_lo, v2, v11
	v_add_co_ci_u32_e32 v9, vcc_lo, 0, v7, vcc_lo
	s_delay_alu instid0(VALU_DEP_2) | instskip(SKIP_1) | instid1(VALU_DEP_3)
	v_mul_lo_u32 v10, s21, v2
	v_mad_u64_u32 v[7:8], null, s20, v2, 0
	v_mul_lo_u32 v11, s20, v9
	s_delay_alu instid0(VALU_DEP_2) | instskip(NEXT) | instid1(VALU_DEP_2)
	v_sub_co_u32 v7, vcc_lo, v5, v7
	v_add3_u32 v8, v8, v11, v10
	s_delay_alu instid0(VALU_DEP_1) | instskip(NEXT) | instid1(VALU_DEP_1)
	v_sub_nc_u32_e32 v10, v6, v8
	v_subrev_co_ci_u32_e64 v10, s2, s21, v10, vcc_lo
	v_add_co_u32 v11, s2, v2, 2
	s_delay_alu instid0(VALU_DEP_1) | instskip(SKIP_3) | instid1(VALU_DEP_3)
	v_add_co_ci_u32_e64 v12, s2, 0, v9, s2
	v_sub_co_u32 v13, s2, v7, s20
	v_sub_co_ci_u32_e32 v8, vcc_lo, v6, v8, vcc_lo
	v_subrev_co_ci_u32_e64 v10, s2, 0, v10, s2
	v_cmp_le_u32_e32 vcc_lo, s20, v13
	s_delay_alu instid0(VALU_DEP_3) | instskip(SKIP_1) | instid1(VALU_DEP_4)
	v_cmp_eq_u32_e64 s2, s21, v8
	v_cndmask_b32_e64 v13, 0, -1, vcc_lo
	v_cmp_le_u32_e32 vcc_lo, s21, v10
	v_cndmask_b32_e64 v14, 0, -1, vcc_lo
	v_cmp_le_u32_e32 vcc_lo, s20, v7
	;; [unrolled: 2-line block ×3, first 2 shown]
	v_cndmask_b32_e64 v15, 0, -1, vcc_lo
	v_cmp_eq_u32_e32 vcc_lo, s21, v10
	s_delay_alu instid0(VALU_DEP_2) | instskip(SKIP_3) | instid1(VALU_DEP_3)
	v_cndmask_b32_e64 v7, v15, v7, s2
	v_cndmask_b32_e32 v10, v14, v13, vcc_lo
	v_add_co_u32 v13, vcc_lo, v2, 1
	v_add_co_ci_u32_e32 v14, vcc_lo, 0, v9, vcc_lo
	v_cmp_ne_u32_e32 vcc_lo, 0, v10
	s_delay_alu instid0(VALU_DEP_2) | instskip(NEXT) | instid1(VALU_DEP_4)
	v_cndmask_b32_e32 v8, v14, v12, vcc_lo
	v_cndmask_b32_e32 v10, v13, v11, vcc_lo
	v_cmp_ne_u32_e32 vcc_lo, 0, v7
	s_delay_alu instid0(VALU_DEP_2)
	v_dual_cndmask_b32 v7, v2, v10 :: v_dual_cndmask_b32 v8, v9, v8
.LBB0_4:                                ;   in Loop: Header=BB0_2 Depth=1
	s_and_not1_saveexec_b32 s2, s3
	s_cbranch_execz .LBB0_6
; %bb.5:                                ;   in Loop: Header=BB0_2 Depth=1
	v_cvt_f32_u32_e32 v2, s20
	s_sub_i32 s3, 0, s20
	s_delay_alu instid0(VALU_DEP_1) | instskip(SKIP_2) | instid1(VALU_DEP_1)
	v_rcp_iflag_f32_e32 v2, v2
	s_waitcnt_depctr 0xfff
	v_mul_f32_e32 v2, 0x4f7ffffe, v2
	v_cvt_u32_f32_e32 v2, v2
	s_delay_alu instid0(VALU_DEP_1) | instskip(NEXT) | instid1(VALU_DEP_1)
	v_mul_lo_u32 v7, s3, v2
	v_mul_hi_u32 v7, v2, v7
	s_delay_alu instid0(VALU_DEP_1) | instskip(NEXT) | instid1(VALU_DEP_1)
	v_add_nc_u32_e32 v2, v2, v7
	v_mul_hi_u32 v2, v5, v2
	s_delay_alu instid0(VALU_DEP_1) | instskip(SKIP_1) | instid1(VALU_DEP_2)
	v_mul_lo_u32 v7, v2, s20
	v_add_nc_u32_e32 v8, 1, v2
	v_sub_nc_u32_e32 v7, v5, v7
	s_delay_alu instid0(VALU_DEP_1) | instskip(SKIP_1) | instid1(VALU_DEP_2)
	v_subrev_nc_u32_e32 v9, s20, v7
	v_cmp_le_u32_e32 vcc_lo, s20, v7
	v_dual_cndmask_b32 v7, v7, v9 :: v_dual_cndmask_b32 v2, v2, v8
	s_delay_alu instid0(VALU_DEP_1) | instskip(NEXT) | instid1(VALU_DEP_2)
	v_cmp_le_u32_e32 vcc_lo, s20, v7
	v_add_nc_u32_e32 v8, 1, v2
	s_delay_alu instid0(VALU_DEP_1)
	v_dual_cndmask_b32 v7, v2, v8 :: v_dual_mov_b32 v8, v1
.LBB0_6:                                ;   in Loop: Header=BB0_2 Depth=1
	s_or_b32 exec_lo, exec_lo, s2
	s_load_b64 s[2:3], s[14:15], 0x0
	s_delay_alu instid0(VALU_DEP_1) | instskip(NEXT) | instid1(VALU_DEP_2)
	v_mul_lo_u32 v2, v8, s20
	v_mul_lo_u32 v11, v7, s21
	v_mad_u64_u32 v[9:10], null, v7, s20, 0
	s_add_u32 s18, s18, 1
	s_addc_u32 s19, s19, 0
	s_add_u32 s14, s14, 8
	s_addc_u32 s15, s15, 0
	;; [unrolled: 2-line block ×3, first 2 shown]
	s_delay_alu instid0(VALU_DEP_1) | instskip(SKIP_1) | instid1(VALU_DEP_2)
	v_add3_u32 v2, v10, v11, v2
	v_sub_co_u32 v9, vcc_lo, v5, v9
	v_sub_co_ci_u32_e32 v2, vcc_lo, v6, v2, vcc_lo
	s_waitcnt lgkmcnt(0)
	s_delay_alu instid0(VALU_DEP_2) | instskip(NEXT) | instid1(VALU_DEP_2)
	v_mul_lo_u32 v10, s3, v9
	v_mul_lo_u32 v2, s2, v2
	v_mad_u64_u32 v[5:6], null, s2, v9, v[3:4]
	v_cmp_ge_u64_e64 s2, s[18:19], s[6:7]
	s_delay_alu instid0(VALU_DEP_1) | instskip(NEXT) | instid1(VALU_DEP_2)
	s_and_b32 vcc_lo, exec_lo, s2
	v_add3_u32 v4, v10, v6, v2
	s_delay_alu instid0(VALU_DEP_3)
	v_mov_b32_e32 v3, v5
	s_cbranch_vccnz .LBB0_9
; %bb.7:                                ;   in Loop: Header=BB0_2 Depth=1
	v_dual_mov_b32 v5, v7 :: v_dual_mov_b32 v6, v8
	s_branch .LBB0_2
.LBB0_8:
	v_dual_mov_b32 v8, v6 :: v_dual_mov_b32 v7, v5
.LBB0_9:
	s_lshl_b64 s[2:3], s[6:7], 3
	v_mul_hi_u32 v1, 0x1e573ad, v0
	s_add_u32 s2, s12, s2
	s_addc_u32 s3, s13, s3
	s_load_b64 s[0:1], s[0:1], 0x20
	s_load_b64 s[2:3], s[2:3], 0x0
                                        ; implicit-def: $vgpr49
                                        ; implicit-def: $vgpr51
                                        ; implicit-def: $vgpr56
                                        ; implicit-def: $vgpr57
	s_delay_alu instid0(VALU_DEP_1) | instskip(NEXT) | instid1(VALU_DEP_1)
	v_mul_u32_u24_e32 v1, 0x87, v1
	v_sub_nc_u32_e32 v41, v0, v1
	s_delay_alu instid0(VALU_DEP_1)
	v_add_nc_u32_e32 v43, 0x87, v41
	v_add_nc_u32_e32 v42, 0x10e, v41
	;; [unrolled: 1-line block ×4, first 2 shown]
	s_waitcnt lgkmcnt(0)
	v_cmp_gt_u64_e32 vcc_lo, s[0:1], v[7:8]
	v_mul_lo_u32 v2, s2, v8
	v_mul_lo_u32 v5, s3, v7
	v_mad_u64_u32 v[0:1], null, s2, v7, v[3:4]
	v_cmp_le_u64_e64 s0, s[0:1], v[7:8]
	s_delay_alu instid0(VALU_DEP_2) | instskip(NEXT) | instid1(VALU_DEP_2)
	v_add3_u32 v1, v5, v1, v2
	s_and_saveexec_b32 s1, s0
	s_delay_alu instid0(SALU_CYCLE_1)
	s_xor_b32 s0, exec_lo, s1
; %bb.10:
	v_add_nc_u32_e32 v49, 0x87, v41
	v_add_nc_u32_e32 v51, 0x10e, v41
	;; [unrolled: 1-line block ×4, first 2 shown]
; %bb.11:
	s_or_saveexec_b32 s1, s0
	v_lshlrev_b64 v[24:25], 3, v[0:1]
	v_add_nc_u32_e32 v47, 0x2a3, v41
	v_add_nc_u32_e32 v48, 0x546, v41
	v_add_nc_u32_e32 v46, 0x32a, v41
	v_add_nc_u32_e32 v45, 0x5cd, v41
                                        ; implicit-def: $vgpr21
                                        ; implicit-def: $vgpr23
                                        ; implicit-def: $vgpr7
                                        ; implicit-def: $vgpr27
                                        ; implicit-def: $vgpr29
                                        ; implicit-def: $vgpr9
                                        ; implicit-def: $vgpr31
                                        ; implicit-def: $vgpr15
                                        ; implicit-def: $vgpr5
                                        ; implicit-def: $vgpr17
                                        ; implicit-def: $vgpr19
                                        ; implicit-def: $vgpr1
                                        ; implicit-def: $vgpr11
                                        ; implicit-def: $vgpr13
                                        ; implicit-def: $vgpr3
	s_xor_b32 exec_lo, exec_lo, s1
	s_cbranch_execz .LBB0_13
; %bb.12:
	v_mad_u64_u32 v[0:1], null, s8, v41, 0
	v_mad_u64_u32 v[2:3], null, s8, v47, 0
	;; [unrolled: 1-line block ×3, first 2 shown]
	v_add_nc_u32_e32 v22, 0x3b1, v41
	v_add_co_u32 v37, s0, s10, v24
	s_delay_alu instid0(VALU_DEP_1)
	v_add_co_ci_u32_e64 v38, s0, s11, v25, s0
	v_mad_u64_u32 v[4:5], null, s9, v41, v[1:2]
	v_mad_u64_u32 v[5:6], null, s8, v48, 0
	v_mov_b32_e32 v1, v3
	v_mad_u64_u32 v[20:21], null, s8, v22, 0
	v_mad_u64_u32 v[14:15], null, s8, v46, 0
	s_delay_alu instid0(VALU_DEP_3) | instskip(SKIP_3) | instid1(VALU_DEP_4)
	v_mad_u64_u32 v[9:10], null, s9, v47, v[1:2]
	v_dual_mov_b32 v1, v4 :: v_dual_mov_b32 v4, v6
	v_mov_b32_e32 v6, v8
	v_mad_u64_u32 v[18:19], null, s8, v42, 0
	v_dual_mov_b32 v3, v9 :: v_dual_add_nc_u32 v26, 0x654, v41
	s_delay_alu instid0(VALU_DEP_4) | instskip(NEXT) | instid1(VALU_DEP_4)
	v_mad_u64_u32 v[8:9], null, s9, v48, v[4:5]
	v_mad_u64_u32 v[9:10], null, s9, v43, v[6:7]
	s_delay_alu instid0(VALU_DEP_3)
	v_lshlrev_b64 v[2:3], 3, v[2:3]
	v_mov_b32_e32 v4, v15
	v_add_nc_u32_e32 v30, 0x438, v41
	v_mov_b32_e32 v56, v40
	v_dual_mov_b32 v6, v8 :: v_dual_add_nc_u32 v31, 0x6db, v41
	v_mov_b32_e32 v8, v9
	v_lshlrev_b64 v[0:1], 3, v[0:1]
	v_add_nc_u32_e32 v35, 0x4bf, v41
	v_mov_b32_e32 v57, v44
	v_mov_b32_e32 v51, v42
	v_lshlrev_b64 v[7:8], 3, v[7:8]
	v_mov_b32_e32 v49, v43
	v_add_co_u32 v0, s0, v37, v0
	s_delay_alu instid0(VALU_DEP_1) | instskip(SKIP_1) | instid1(VALU_DEP_1)
	v_add_co_ci_u32_e64 v1, s0, v38, v1, s0
	v_add_co_u32 v10, s0, v37, v2
	v_add_co_ci_u32_e64 v11, s0, v38, v3, s0
	v_lshlrev_b64 v[2:3], 3, v[5:6]
	v_mad_u64_u32 v[5:6], null, s8, v45, 0
	s_delay_alu instid0(VALU_DEP_2) | instskip(NEXT) | instid1(VALU_DEP_1)
	v_add_co_u32 v16, s0, v37, v2
	v_add_co_ci_u32_e64 v17, s0, v38, v3, s0
	s_delay_alu instid0(VALU_DEP_3) | instskip(NEXT) | instid1(VALU_DEP_4)
	v_mad_u64_u32 v[12:13], null, s9, v46, v[4:5]
	v_mov_b32_e32 v2, v6
	v_add_co_u32 v6, s0, v37, v7
	s_delay_alu instid0(VALU_DEP_1) | instskip(NEXT) | instid1(VALU_DEP_3)
	v_add_co_ci_u32_e64 v7, s0, v38, v8, s0
	v_mad_u64_u32 v[8:9], null, s9, v45, v[2:3]
	v_mov_b32_e32 v15, v12
	s_clause 0x3
	global_load_b64 v[2:3], v[0:1], off
	global_load_b64 v[12:13], v[10:11], off
	;; [unrolled: 1-line block ×4, first 2 shown]
	v_dual_mov_b32 v4, v19 :: v_dual_mov_b32 v7, v21
	v_lshlrev_b64 v[14:15], 3, v[14:15]
	v_mov_b32_e32 v6, v8
	s_delay_alu instid0(VALU_DEP_3) | instskip(NEXT) | instid1(VALU_DEP_2)
	v_mad_u64_u32 v[8:9], null, s9, v42, v[4:5]
	v_lshlrev_b64 v[4:5], 3, v[5:6]
	s_delay_alu instid0(VALU_DEP_4) | instskip(NEXT) | instid1(VALU_DEP_3)
	v_add_co_u32 v6, s0, v37, v14
	v_mad_u64_u32 v[16:17], null, s9, v22, v[7:8]
	v_mad_u64_u32 v[22:23], null, s8, v26, 0
	v_mov_b32_e32 v19, v8
	v_add_co_ci_u32_e64 v7, s0, v38, v15, s0
	v_add_co_u32 v4, s0, v37, v4
	s_delay_alu instid0(VALU_DEP_4) | instskip(NEXT) | instid1(VALU_DEP_4)
	v_dual_mov_b32 v21, v16 :: v_dual_mov_b32 v8, v23
	v_lshlrev_b64 v[14:15], 3, v[18:19]
	v_add_co_ci_u32_e64 v5, s0, v38, v5, s0
	s_delay_alu instid0(VALU_DEP_3) | instskip(NEXT) | instid1(VALU_DEP_4)
	v_lshlrev_b64 v[16:17], 3, v[20:21]
	v_mad_u64_u32 v[18:19], null, s9, v26, v[8:9]
	v_mad_u64_u32 v[8:9], null, s8, v40, 0
	v_add_co_u32 v14, s0, v37, v14
	s_delay_alu instid0(VALU_DEP_1) | instskip(NEXT) | instid1(VALU_DEP_4)
	v_add_co_ci_u32_e64 v15, s0, v38, v15, s0
	v_mov_b32_e32 v23, v18
	v_mad_u64_u32 v[26:27], null, s8, v30, 0
	v_add_co_u32 v20, s0, v37, v16
	s_delay_alu instid0(VALU_DEP_1)
	v_add_co_ci_u32_e64 v21, s0, v38, v17, s0
	s_clause 0x3
	global_load_b64 v[18:19], v[6:7], off
	global_load_b64 v[16:17], v[4:5], off
	;; [unrolled: 1-line block ×4, first 2 shown]
	v_lshlrev_b64 v[6:7], 3, v[22:23]
	v_mad_u64_u32 v[21:22], null, s8, v31, 0
	v_mov_b32_e32 v20, v27
	s_delay_alu instid0(VALU_DEP_3) | instskip(NEXT) | instid1(VALU_DEP_1)
	v_add_co_u32 v6, s0, v37, v6
	v_add_co_ci_u32_e64 v7, s0, v38, v7, s0
	s_waitcnt vmcnt(5)
	v_mad_u64_u32 v[28:29], null, s9, v40, v[9:10]
	s_delay_alu instid0(VALU_DEP_1) | instskip(SKIP_3) | instid1(VALU_DEP_4)
	v_mov_b32_e32 v9, v28
	v_mad_u64_u32 v[27:28], null, s9, v30, v[20:21]
	v_mad_u64_u32 v[28:29], null, s8, v44, 0
	v_mov_b32_e32 v20, v22
	v_lshlrev_b64 v[8:9], 3, v[8:9]
	s_delay_alu instid0(VALU_DEP_4) | instskip(NEXT) | instid1(VALU_DEP_3)
	v_lshlrev_b64 v[26:27], 3, v[26:27]
	v_mad_u64_u32 v[22:23], null, s9, v31, v[20:21]
	v_mov_b32_e32 v20, v29
	v_mad_u64_u32 v[30:31], null, s8, v35, 0
	v_add_nc_u32_e32 v23, 0x762, v41
	v_add_co_u32 v8, s0, v37, v8
	s_delay_alu instid0(VALU_DEP_4) | instskip(NEXT) | instid1(VALU_DEP_3)
	v_mad_u64_u32 v[32:33], null, s9, v44, v[20:21]
	v_mad_u64_u32 v[33:34], null, s8, v23, 0
	v_mov_b32_e32 v20, v31
	v_add_co_ci_u32_e64 v9, s0, v38, v9, s0
	v_add_co_u32 v26, s0, v37, v26
	v_mov_b32_e32 v29, v32
	s_delay_alu instid0(VALU_DEP_4) | instskip(SKIP_2) | instid1(VALU_DEP_4)
	v_mad_u64_u32 v[31:32], null, s9, v35, v[20:21]
	v_lshlrev_b64 v[21:22], 3, v[21:22]
	v_mov_b32_e32 v20, v34
	v_lshlrev_b64 v[28:29], 3, v[28:29]
	v_add_co_ci_u32_e64 v27, s0, v38, v27, s0
	s_delay_alu instid0(VALU_DEP_3) | instskip(SKIP_1) | instid1(VALU_DEP_1)
	v_mad_u64_u32 v[34:35], null, s9, v23, v[20:21]
	v_add_co_u32 v20, s0, v37, v21
	v_add_co_ci_u32_e64 v21, s0, v38, v22, s0
	v_lshlrev_b64 v[22:23], 3, v[30:31]
	v_add_co_u32 v35, s0, v37, v28
	s_delay_alu instid0(VALU_DEP_1) | instskip(SKIP_1) | instid1(VALU_DEP_4)
	v_add_co_ci_u32_e64 v36, s0, v38, v29, s0
	v_lshlrev_b64 v[28:29], 3, v[33:34]
	v_add_co_u32 v22, s0, v37, v22
	s_delay_alu instid0(VALU_DEP_1) | instskip(NEXT) | instid1(VALU_DEP_3)
	v_add_co_ci_u32_e64 v23, s0, v38, v23, s0
	v_add_co_u32 v32, s0, v37, v28
	s_delay_alu instid0(VALU_DEP_1)
	v_add_co_ci_u32_e64 v33, s0, v38, v29, s0
	s_clause 0x6
	global_load_b64 v[30:31], v[6:7], off
	global_load_b64 v[8:9], v[8:9], off
	;; [unrolled: 1-line block ×7, first 2 shown]
.LBB0_13:
	s_or_b32 exec_lo, exec_lo, s1
	v_dual_add_f32 v32, v10, v12 :: v_dual_add_f32 v33, v12, v2
	v_dual_sub_f32 v34, v13, v11 :: v_dual_add_f32 v35, v11, v13
	v_sub_f32_e32 v12, v12, v10
	s_delay_alu instid0(VALU_DEP_3) | instskip(NEXT) | instid1(VALU_DEP_3)
	v_dual_fmac_f32 v2, -0.5, v32 :: v_dual_add_f32 v13, v13, v3
	v_dual_add_f32 v10, v10, v33 :: v_dual_fmac_f32 v3, -0.5, v35
	v_mad_u32_u24 v72, v41, 12, 0
	s_delay_alu instid0(VALU_DEP_3)
	v_dual_fmamk_f32 v32, v34, 0xbf5db3d7, v2 :: v_dual_add_f32 v11, v11, v13
	s_waitcnt vmcnt(9)
	v_add_f32_e32 v13, v16, v18
	v_dual_fmac_f32 v2, 0x3f5db3d7, v34 :: v_dual_add_f32 v33, v18, v0
	v_fmamk_f32 v38, v12, 0x3f5db3d7, v3
	v_dual_fmac_f32 v3, 0xbf5db3d7, v12 :: v_dual_add_f32 v12, v17, v19
	s_delay_alu instid0(VALU_DEP_4)
	v_fmac_f32_e32 v0, -0.5, v13
	v_sub_f32_e32 v13, v19, v17
	v_add_f32_e32 v19, v19, v1
	v_add_f32_e32 v33, v16, v33
	v_fmac_f32_e32 v1, -0.5, v12
	v_sub_f32_e32 v12, v18, v16
	v_fmamk_f32 v16, v13, 0xbf5db3d7, v0
	v_dual_fmac_f32 v0, 0x3f5db3d7, v13 :: v_dual_add_f32 v13, v17, v19
	s_waitcnt vmcnt(6)
	s_delay_alu instid0(VALU_DEP_3) | instskip(SKIP_2) | instid1(VALU_DEP_3)
	v_dual_add_f32 v17, v30, v14 :: v_dual_fmamk_f32 v18, v12, 0x3f5db3d7, v1
	v_add_f32_e32 v19, v14, v4
	v_dual_fmac_f32 v1, 0xbf5db3d7, v12 :: v_dual_add_f32 v12, v31, v15
	v_dual_fmac_f32 v4, -0.5, v17 :: v_dual_sub_f32 v17, v15, v31
	s_delay_alu instid0(VALU_DEP_3) | instskip(SKIP_1) | instid1(VALU_DEP_4)
	v_add_f32_e32 v19, v30, v19
	v_add_f32_e32 v15, v15, v5
	v_dual_fmac_f32 v5, -0.5, v12 :: v_dual_sub_f32 v12, v14, v30
	s_delay_alu instid0(VALU_DEP_4)
	v_fmamk_f32 v14, v17, 0xbf5db3d7, v4
	s_waitcnt vmcnt(3)
	v_dual_fmac_f32 v4, 0x3f5db3d7, v17 :: v_dual_add_f32 v17, v26, v28
	v_add_f32_e32 v30, v28, v8
	v_fmamk_f32 v39, v12, 0x3f5db3d7, v5
	v_dual_fmac_f32 v5, 0xbf5db3d7, v12 :: v_dual_add_f32 v12, v27, v29
	s_delay_alu instid0(VALU_DEP_4) | instskip(SKIP_2) | instid1(VALU_DEP_4)
	v_dual_add_f32 v15, v31, v15 :: v_dual_fmac_f32 v8, -0.5, v17
	v_sub_f32_e32 v17, v29, v27
	v_dual_add_f32 v29, v29, v9 :: v_dual_add_f32 v30, v26, v30
	v_dual_fmac_f32 v9, -0.5, v12 :: v_dual_sub_f32 v12, v28, v26
	s_waitcnt vmcnt(1)
	v_add_f32_e32 v28, v22, v6
	v_fmamk_f32 v26, v17, 0xbf5db3d7, v8
	v_fmac_f32_e32 v8, 0x3f5db3d7, v17
	v_add_f32_e32 v17, v27, v29
	s_waitcnt vmcnt(0)
	v_add_f32_e32 v27, v20, v22
	v_fmamk_f32 v71, v12, 0x3f5db3d7, v9
	v_add_f32_e32 v28, v20, v28
	v_mad_i32_i24 v50, v49, 12, 0
	ds_store_2addr_b32 v72, v10, v32 offset1:1
	ds_store_b32 v72, v2 offset:8
	v_dual_fmac_f32 v6, -0.5, v27 :: v_dual_sub_f32 v27, v23, v21
	v_dual_fmac_f32 v9, 0xbf5db3d7, v12 :: v_dual_add_f32 v12, v21, v23
	v_add_f32_e32 v23, v23, v7
	ds_store_2addr_b32 v50, v33, v16 offset1:1
	ds_store_b32 v50, v0 offset:8
	v_lshlrev_b32_e32 v0, 3, v41
	v_mad_i32_i24 v52, v51, 12, 0
	v_fmac_f32_e32 v7, -0.5, v12
	v_sub_f32_e32 v12, v22, v20
	v_fmamk_f32 v20, v27, 0xbf5db3d7, v6
	v_fmac_f32_e32 v6, 0x3f5db3d7, v27
	v_sub_nc_u32_e32 v53, v72, v0
	v_mad_i32_i24 v54, v56, 12, 0
	v_dual_fmamk_f32 v74, v12, 0x3f5db3d7, v7 :: v_dual_add_f32 v73, v21, v23
	v_mad_i32_i24 v55, v57, 12, 0
	s_delay_alu instid0(VALU_DEP_4)
	v_add_nc_u32_e32 v59, 0x1200, v53
	ds_store_2addr_b32 v52, v19, v14 offset1:1
	ds_store_b32 v52, v4 offset:8
	ds_store_2addr_b32 v54, v30, v26 offset1:1
	ds_store_b32 v54, v8 offset:8
	;; [unrolled: 2-line block ×3, first 2 shown]
	s_waitcnt lgkmcnt(0)
	s_barrier
	buffer_gl0_inv
	ds_load_2addr_b32 v[20:21], v59 offset0:63 offset1:198
	v_add_nc_u32_e32 v60, 0x1600, v53
	v_add_nc_u32_e32 v58, 0xa00, v53
	v_lshlrev_b32_e32 v61, 3, v49
	v_lshlrev_b32_e32 v63, 3, v51
	;; [unrolled: 1-line block ×3, first 2 shown]
	ds_load_2addr_b32 v[26:27], v60 offset0:77 offset1:212
	v_and_b32_e32 v34, 0xff, v41
	ds_load_2addr_b32 v[22:23], v58 offset0:35 offset1:170
	v_and_b32_e32 v33, 0xffff, v49
	v_dual_fmac_f32 v7, 0xbf5db3d7, v12 :: v_dual_lshlrev_b32 v66, 3, v57
	v_mul_lo_u16 v0, 0xab, v34
	v_add_nc_u32_e32 v62, 0xe00, v53
	v_add_nc_u32_e32 v64, 0x1a00, v53
	v_sub_nc_u32_e32 v67, v50, v61
	v_sub_nc_u32_e32 v68, v52, v63
	v_lshrrev_b16 v86, 9, v0
	v_mul_u32_u24_e32 v0, 0xaaab, v33
	v_sub_nc_u32_e32 v69, v54, v65
	v_sub_nc_u32_e32 v70, v55, v66
	ds_load_2addr_b32 v[28:29], v62 offset0:49 offset1:184
	v_mul_lo_u16 v2, v86, 3
	v_lshrrev_b32_e32 v87, 17, v0
	ds_load_2addr_b32 v[30:31], v64 offset0:91 offset1:226
	ds_load_b32 v77, v53
	ds_load_b32 v76, v67
	;; [unrolled: 1-line block ×5, first 2 shown]
	s_waitcnt lgkmcnt(0)
	v_sub_nc_u16 v0, v41, v2
	v_mul_lo_u16 v2, v87, 3
	s_barrier
	buffer_gl0_inv
	ds_store_2addr_b32 v72, v11, v38 offset1:1
	ds_store_b32 v72, v3 offset:8
	v_and_b32_e32 v79, 0xff, v0
	ds_store_2addr_b32 v50, v13, v18 offset1:1
	ds_store_b32 v50, v1 offset:8
	ds_store_2addr_b32 v52, v15, v39 offset1:1
	ds_store_b32 v52, v5 offset:8
	v_sub_nc_u16 v1, v49, v2
	ds_store_2addr_b32 v54, v17, v71 offset1:1
	ds_store_b32 v54, v9 offset:8
	ds_store_2addr_b32 v55, v73, v74 offset1:1
	ds_store_b32 v55, v7 offset:8
	v_lshlrev_b32_e32 v2, 4, v79
	s_waitcnt lgkmcnt(0)
	s_barrier
	buffer_gl0_inv
	v_and_b32_e32 v38, 0xffff, v56
	global_load_b128 v[12:15], v2, s[4:5]
	v_and_b32_e32 v32, 0xffff, v51
	v_and_b32_e32 v82, 0xffff, v1
	v_mul_lo_u16 v78, v34, 57
	v_mul_u32_u24_e32 v101, 36, v87
	v_cmp_gt_u32_e64 s0, 0x5a, v41
	v_mul_u32_u24_e32 v0, 0xaaab, v32
	v_mul_u32_u24_e32 v91, 0xe38f, v32
	v_lshrrev_b16 v80, 9, v78
	s_delay_alu instid0(VALU_DEP_3) | instskip(SKIP_1) | instid1(VALU_DEP_4)
	v_lshrrev_b32_e32 v88, 17, v0
	v_mul_u32_u24_e32 v0, 0xaaab, v38
	v_lshrrev_b32_e32 v78, 19, v91
	s_delay_alu instid0(VALU_DEP_4) | instskip(NEXT) | instid1(VALU_DEP_3)
	v_mul_lo_u16 v87, v80, 9
	v_lshrrev_b32_e32 v89, 17, v0
	v_mul_lo_u16 v0, v88, 3
	v_mul_u32_u24_e32 v88, 36, v88
	s_delay_alu instid0(VALU_DEP_4) | instskip(SKIP_1) | instid1(VALU_DEP_4)
	v_sub_nc_u16 v87, v41, v87
	v_mul_lo_u16 v108, v78, 9
	v_sub_nc_u16 v0, v51, v0
	s_delay_alu instid0(VALU_DEP_1) | instskip(SKIP_3) | instid1(VALU_DEP_1)
	v_and_b32_e32 v83, 0xffff, v0
	v_lshlrev_b32_e32 v0, 4, v82
	global_load_b128 v[16:19], v0, s[4:5]
	v_and_b32_e32 v39, 0xffff, v57
	v_mul_u32_u24_e32 v1, 0xaaab, v39
	s_delay_alu instid0(VALU_DEP_1) | instskip(SKIP_2) | instid1(VALU_DEP_3)
	v_lshrrev_b32_e32 v90, 17, v1
	v_mul_lo_u16 v1, v89, 3
	v_mul_u32_u24_e32 v89, 36, v89
	v_mul_lo_u16 v3, v90, 3
	s_delay_alu instid0(VALU_DEP_3) | instskip(SKIP_1) | instid1(VALU_DEP_3)
	v_sub_nc_u16 v1, v56, v1
	v_mul_u32_u24_e32 v90, 36, v90
	v_sub_nc_u16 v2, v57, v3
	s_delay_alu instid0(VALU_DEP_3) | instskip(SKIP_1) | instid1(VALU_DEP_3)
	v_and_b32_e32 v84, 0xffff, v1
	v_lshlrev_b32_e32 v1, 4, v83
	v_and_b32_e32 v85, 0xffff, v2
	global_load_b128 v[8:11], v1, s[4:5]
	v_lshlrev_b32_e32 v0, 4, v84
	v_lshlrev_b32_e32 v1, 4, v85
	s_clause 0x1
	global_load_b128 v[4:7], v0, s[4:5]
	global_load_b128 v[0:3], v1, s[4:5]
	ds_load_2addr_b32 v[91:92], v58 offset0:35 offset1:170
	ds_load_2addr_b32 v[93:94], v59 offset0:63 offset1:198
	;; [unrolled: 1-line block ×4, first 2 shown]
	v_and_b32_e32 v86, 0xffff, v86
	v_add_nc_u32_e32 v74, 0x1000, v53
	s_waitcnt vmcnt(2) lgkmcnt(0)
	v_dual_mul_f32 v110, v97, v9 :: v_dual_lshlrev_b32 v79, 2, v79
	v_mul_f32_e32 v9, v28, v9
	s_waitcnt vmcnt(1)
	s_delay_alu instid0(VALU_DEP_2)
	v_dual_fmac_f32 v110, v28, v8 :: v_dual_mul_f32 v111, v98, v5
	s_waitcnt vmcnt(0)
	v_mul_f32_e32 v113, v93, v1
	v_mul_u32_u24_e32 v109, 36, v86
	v_mul_f32_e32 v5, v29, v5
	v_fma_f32 v8, v97, v8, -v9
	v_fmac_f32_e32 v111, v29, v4
	v_mul_f32_e32 v1, v20, v1
	v_add3_u32 v79, 0, v109, v79
	v_mul_f32_e32 v109, v96, v11
	ds_load_2addr_b32 v[99:100], v64 offset0:91 offset1:226
	v_dual_mul_f32 v11, v27, v11 :: v_dual_lshlrev_b32 v82, 2, v82
	ds_load_b32 v103, v53
	ds_load_b32 v104, v67
	;; [unrolled: 1-line block ×5, first 2 shown]
	v_fmac_f32_e32 v109, v27, v10
	v_fma_f32 v4, v98, v4, -v5
	v_fma_f32 v10, v96, v10, -v11
	v_add3_u32 v82, 0, v101, v82
	v_mul_f32_e32 v101, v95, v19
	v_fmac_f32_e32 v113, v20, v0
	v_dual_mul_f32 v19, v26, v19 :: v_dual_add_f32 v20, v37, v110
	s_waitcnt lgkmcnt(0)
	s_delay_alu instid0(VALU_DEP_3)
	v_fmac_f32_e32 v101, v26, v18
	v_sub_f32_e32 v26, v110, v109
	v_fma_f32 v0, v93, v0, -v1
	s_barrier
	buffer_gl0_inv
	v_mul_f32_e32 v112, v99, v7
	v_dual_mul_f32 v7, v30, v7 :: v_dual_lshlrev_b32 v84, 2, v84
	v_mul_f32_e32 v114, v100, v3
	s_delay_alu instid0(VALU_DEP_3) | instskip(SKIP_1) | instid1(VALU_DEP_4)
	v_dual_mul_f32 v3, v31, v3 :: v_dual_fmac_f32 v112, v30, v6
	v_lshlrev_b32_e32 v83, 2, v83
	v_add3_u32 v84, 0, v89, v84
	v_mul_f32_e32 v89, v94, v15
	v_mul_f32_e32 v15, v21, v15
	v_fma_f32 v5, v99, v6, -v7
	v_add3_u32 v83, 0, v88, v83
	v_mul_f32_e32 v88, v91, v13
	v_dual_mul_f32 v13, v22, v13 :: v_dual_fmac_f32 v114, v31, v2
	v_fma_f32 v1, v100, v2, -v3
	v_dual_fmac_f32 v89, v21, v14 :: v_dual_add_nc_u32 v72, 0x800, v53
	s_delay_alu instid0(VALU_DEP_4) | instskip(SKIP_3) | instid1(VALU_DEP_4)
	v_fmac_f32_e32 v88, v22, v12
	v_mul_u32_u24_e32 v81, 0xe38f, v33
	v_fma_f32 v12, v91, v12, -v13
	v_fma_f32 v13, v94, v14, -v15
	v_dual_add_f32 v2, v77, v88 :: v_dual_and_b32 v87, 0xff, v87
	s_delay_alu instid0(VALU_DEP_4) | instskip(SKIP_1) | instid1(VALU_DEP_4)
	v_lshrrev_b32_e32 v81, 19, v81
	v_dual_sub_f32 v22, v8, v10 :: v_dual_lshlrev_b32 v85, 2, v85
	v_sub_f32_e32 v6, v12, v13
	v_fma_f32 v15, v95, v18, -v19
	s_delay_alu instid0(VALU_DEP_4) | instskip(NEXT) | instid1(VALU_DEP_4)
	v_mul_lo_u16 v102, v81, 9
	v_add3_u32 v85, 0, v90, v85
	v_mul_f32_e32 v90, v92, v17
	v_mul_f32_e32 v17, v23, v17
	v_dual_add_f32 v3, v88, v89 :: v_dual_add_f32 v28, v111, v112
	v_sub_nc_u16 v102, v49, v102
	s_delay_alu instid0(VALU_DEP_4) | instskip(NEXT) | instid1(VALU_DEP_4)
	v_fmac_f32_e32 v90, v23, v16
	v_fma_f32 v14, v92, v16, -v17
	v_dual_add_f32 v9, v12, v13 :: v_dual_add_f32 v30, v106, v4
	s_delay_alu instid0(VALU_DEP_4) | instskip(SKIP_1) | instid1(VALU_DEP_4)
	v_and_b32_e32 v86, 0xffff, v102
	v_lshlrev_b32_e32 v102, 5, v87
	v_dual_add_f32 v18, v104, v14 :: v_dual_add_nc_u32 v73, 0x1800, v53
	v_add_nc_u32_e32 v71, 0x1400, v53
	v_add_f32_e32 v16, v90, v101
	v_sub_f32_e32 v17, v14, v15
	v_dual_add_f32 v14, v14, v15 :: v_dual_add_nc_u32 v75, 0xc00, v53
	v_add_f32_e32 v7, v103, v12
	v_sub_f32_e32 v11, v88, v89
	v_dual_add_f32 v12, v76, v90 :: v_dual_sub_f32 v19, v90, v101
	v_dual_add_f32 v92, v107, v0 :: v_dual_add_f32 v21, v110, v109
	v_fmac_f32_e32 v76, -0.5, v16
	v_dual_add_f32 v23, v105, v8 :: v_dual_add_f32 v88, v35, v113
	v_add_f32_e32 v8, v8, v10
	v_dual_sub_f32 v29, v4, v5 :: v_dual_fmac_f32 v104, -0.5, v14
	v_add_f32_e32 v4, v4, v5
	v_dual_add_f32 v90, v113, v114 :: v_dual_add_f32 v27, v36, v111
	v_dual_add_f32 v2, v2, v89 :: v_dual_sub_f32 v31, v111, v112
	v_dual_sub_f32 v91, v0, v1 :: v_dual_add_f32 v10, v23, v10
	v_dual_add_f32 v0, v0, v1 :: v_dual_fmac_f32 v77, -0.5, v3
	v_dual_fmac_f32 v103, -0.5, v9 :: v_dual_fmac_f32 v106, -0.5, v4
	v_dual_add_f32 v3, v7, v13 :: v_dual_fmac_f32 v36, -0.5, v28
	v_fmac_f32_e32 v37, -0.5, v21
	v_fmac_f32_e32 v105, -0.5, v8
	;; [unrolled: 1-line block ×3, first 2 shown]
	v_dual_sub_f32 v93, v113, v114 :: v_dual_add_f32 v8, v27, v112
	v_add_f32_e32 v7, v12, v101
	v_add_f32_e32 v5, v30, v5
	v_dual_fmac_f32 v107, -0.5, v0 :: v_dual_fmamk_f32 v14, v29, 0xbf5db3d7, v36
	v_fmamk_f32 v0, v6, 0xbf5db3d7, v77
	v_dual_fmac_f32 v77, 0x3f5db3d7, v6 :: v_dual_fmac_f32 v36, 0x3f5db3d7, v29
	v_fmamk_f32 v6, v11, 0x3f5db3d7, v103
	v_fmac_f32_e32 v103, 0xbf5db3d7, v11
	v_dual_add_f32 v9, v18, v15 :: v_dual_add_f32 v4, v88, v114
	v_fmamk_f32 v11, v17, 0xbf5db3d7, v76
	v_fmamk_f32 v30, v19, 0x3f5db3d7, v104
	v_fmac_f32_e32 v76, 0x3f5db3d7, v17
	v_fmac_f32_e32 v104, 0xbf5db3d7, v19
	v_add_f32_e32 v12, v20, v109
	v_dual_add_f32 v1, v92, v1 :: v_dual_fmamk_f32 v88, v26, 0x3f5db3d7, v105
	v_fmamk_f32 v13, v22, 0xbf5db3d7, v37
	v_fmamk_f32 v29, v31, 0x3f5db3d7, v106
	;; [unrolled: 1-line block ×3, first 2 shown]
	v_fmac_f32_e32 v37, 0x3f5db3d7, v22
	v_dual_fmac_f32 v105, 0xbf5db3d7, v26 :: v_dual_fmac_f32 v106, 0xbf5db3d7, v31
	v_fmac_f32_e32 v35, 0x3f5db3d7, v91
	ds_store_2addr_b32 v79, v2, v0 offset1:3
	ds_store_b32 v79, v77 offset:24
	ds_store_2addr_b32 v82, v7, v11 offset1:3
	ds_store_b32 v82, v76 offset:24
	;; [unrolled: 2-line block ×5, first 2 shown]
	s_waitcnt lgkmcnt(0)
	s_barrier
	buffer_gl0_inv
	ds_load_b32 v22, v53
	ds_load_2addr_b32 v[20:21], v75 offset0:42 offset1:177
	ds_load_2addr_b32 v[12:13], v74 offset0:56 offset1:191
	;; [unrolled: 1-line block ×5, first 2 shown]
	ds_load_b32 v28, v69
	ds_load_b32 v23, v68
	ds_load_b32 v26, v67
	ds_load_b32 v27, v53 offset:7560
	v_fmamk_f32 v31, v93, 0x3f5db3d7, v107
	v_fmac_f32_e32 v107, 0xbf5db3d7, v93
	s_waitcnt lgkmcnt(0)
	s_barrier
	buffer_gl0_inv
	ds_store_2addr_b32 v79, v3, v6 offset1:3
	ds_store_b32 v79, v103 offset:24
	ds_store_2addr_b32 v82, v9, v30 offset1:3
	ds_store_b32 v82, v104 offset:24
	;; [unrolled: 2-line block ×5, first 2 shown]
	s_waitcnt lgkmcnt(0)
	s_barrier
	buffer_gl0_inv
	v_sub_nc_u16 v8, v51, v108
	global_load_b128 v[4:7], v102, s[4:5] offset:64
	v_lshlrev_b32_e32 v29, 5, v86
	global_load_b128 v[0:3], v102, s[4:5] offset:48
	v_mul_u32_u24_e32 v33, 0x2d83, v33
	v_and_b32_e32 v31, 0xffff, v8
	v_mul_u32_u24_e32 v36, 0xb4, v78
	global_load_b128 v[8:11], v29, s[4:5] offset:48
	v_mul_u32_u24_e32 v35, 0xb4, v81
	v_lshrrev_b32_e32 v76, 19, v33
	v_lshlrev_b32_e32 v30, 5, v31
	s_clause 0x2
	global_load_b128 v[82:85], v29, s[4:5] offset:64
	global_load_b128 v[88:91], v30, s[4:5] offset:48
	global_load_b128 v[92:95], v30, s[4:5] offset:64
	v_mul_lo_u16 v29, 0x6d, v34
	ds_load_b32 v97, v69
	v_lshlrev_b32_e32 v81, 2, v87
	v_lshlrev_b32_e32 v86, 2, v86
	v_mul_u32_u24_e32 v32, 0x2d83, v32
	v_lshrrev_b16 v29, 8, v29
	v_mul_u32_u24_e32 v39, 0x91a3, v39
	v_mul_u32_u24_e32 v38, 0x91a3, v38
	v_add3_u32 v99, 0, v35, v86
	v_lshrrev_b32_e32 v79, 19, v32
	v_sub_nc_u16 v30, v41, v29
	s_delay_alu instid0(VALU_DEP_2) | instskip(NEXT) | instid1(VALU_DEP_2)
	v_mul_lo_u16 v96, v79, 45
	v_lshrrev_b16 v30, 1, v30
	v_mul_u32_u24_e32 v79, 0x384, v79
	s_delay_alu instid0(VALU_DEP_2) | instskip(NEXT) | instid1(VALU_DEP_1)
	v_and_b32_e32 v30, 0x7f, v30
	v_add_nc_u16 v29, v30, v29
	v_mul_lo_u16 v30, v76, 45
	s_delay_alu instid0(VALU_DEP_2) | instskip(SKIP_1) | instid1(VALU_DEP_3)
	v_lshrrev_b16 v77, 5, v29
	v_and_b32_e32 v29, 0xffff, v80
	v_sub_nc_u16 v30, v49, v30
	s_delay_alu instid0(VALU_DEP_3) | instskip(NEXT) | instid1(VALU_DEP_3)
	v_mul_lo_u16 v32, v77, 45
	v_mul_u32_u24_e32 v37, 0xb4, v29
	s_delay_alu instid0(VALU_DEP_3) | instskip(SKIP_2) | instid1(VALU_DEP_1)
	v_and_b32_e32 v78, 0xffff, v30
	ds_load_2addr_b32 v[29:30], v75 offset0:42 offset1:177
	v_sub_nc_u16 v33, v41, v32
	v_and_b32_e32 v80, 0xff, v33
	ds_load_2addr_b32 v[33:34], v73 offset0:84 offset1:219
	s_waitcnt vmcnt(4) lgkmcnt(1)
	v_mul_f32_e32 v105, v29, v3
	s_waitcnt vmcnt(3)
	v_mul_f32_e32 v108, v30, v11
	s_delay_alu instid0(VALU_DEP_1)
	v_dual_fmac_f32 v108, v21, v10 :: v_dual_lshlrev_b32 v87, 2, v31
	ds_load_2addr_b32 v[31:32], v74 offset0:56 offset1:191
	s_waitcnt vmcnt(2) lgkmcnt(1)
	v_mul_f32_e32 v110, v34, v85
	v_add3_u32 v100, 0, v36, v87
	ds_load_2addr_b32 v[35:36], v72 offset0:28 offset1:163
	v_fmac_f32_e32 v110, v19, v84
	s_waitcnt lgkmcnt(1)
	v_mul_f32_e32 v106, v32, v5
	s_waitcnt vmcnt(1) lgkmcnt(0)
	v_mul_f32_e32 v112, v36, v89
	s_delay_alu instid0(VALU_DEP_2) | instskip(NEXT) | instid1(VALU_DEP_2)
	v_fmac_f32_e32 v106, v13, v4
	v_fmac_f32_e32 v112, v17, v88
	v_add3_u32 v98, 0, v37, v81
	ds_load_2addr_b32 v[86:87], v71 offset0:70 offset1:205
	ds_load_b32 v102, v67
	ds_load_b32 v103, v68
	ds_load_b32 v37, v53 offset:7560
	ds_load_b32 v104, v53
	v_mul_f32_e32 v81, v97, v1
	v_mul_f32_e32 v1, v28, v1
	v_fmac_f32_e32 v105, v20, v2
	s_waitcnt vmcnt(0) lgkmcnt(0)
	s_barrier
	v_fmac_f32_e32 v81, v28, v0
	v_mul_f32_e32 v3, v20, v3
	v_fma_f32 v0, v97, v0, -v1
	buffer_gl0_inv
	v_dual_mul_f32 v111, v86, v83 :: v_dual_mul_f32 v114, v87, v93
	s_delay_alu instid0(VALU_DEP_1) | instskip(SKIP_3) | instid1(VALU_DEP_4)
	v_dual_mul_f32 v28, v37, v95 :: v_dual_fmac_f32 v111, v14, v82
	v_dual_mul_f32 v83, v14, v83 :: v_dual_sub_f32 v14, v81, v105
	v_fma_f32 v2, v29, v2, -v3
	v_mul_f32_e32 v107, v33, v7
	v_sub_f32_e32 v124, v108, v111
	v_fmac_f32_e32 v114, v15, v92
	v_fmac_f32_e32 v28, v27, v94
	s_delay_alu instid0(VALU_DEP_4) | instskip(SKIP_2) | instid1(VALU_DEP_1)
	v_fmac_f32_e32 v107, v18, v6
	v_mul_f32_e32 v5, v13, v5
	v_mul_f32_e32 v109, v35, v9
	v_fmac_f32_e32 v109, v16, v8
	v_mul_f32_e32 v7, v18, v7
	v_mul_f32_e32 v11, v21, v11
	v_sub_f32_e32 v18, v106, v107
	v_fma_f32 v3, v32, v4, -v5
	v_add_f32_e32 v32, v26, v109
	v_mul_f32_e32 v9, v16, v9
	v_fma_f32 v4, v33, v6, -v7
	v_fma_f32 v5, v30, v10, -v11
	v_add_f32_e32 v20, v2, v3
	v_sub_f32_e32 v30, v2, v0
	v_fma_f32 v6, v35, v8, -v9
	v_mul_f32_e32 v113, v31, v91
	v_fma_f32 v8, v86, v82, -v83
	v_mul_f32_e32 v89, v17, v89
	v_fma_f32 v20, -0.5, v20, v104
	s_delay_alu instid0(VALU_DEP_2) | instskip(SKIP_3) | instid1(VALU_DEP_1)
	v_fma_f32 v9, v36, v88, -v89
	v_sub_f32_e32 v88, v5, v6
	v_fmac_f32_e32 v113, v12, v90
	v_mul_f32_e32 v1, v27, v95
	v_fma_f32 v1, v37, v94, -v1
	v_mul_f32_e32 v93, v15, v93
	v_add_f32_e32 v94, v23, v112
	v_sub_f32_e32 v122, v105, v106
	s_delay_alu instid0(VALU_DEP_4) | instskip(NEXT) | instid1(VALU_DEP_4)
	v_add_f32_e32 v118, v9, v1
	v_fma_f32 v11, v87, v92, -v93
	v_sub_f32_e32 v15, v107, v106
	v_dual_add_f32 v16, v81, v107 :: v_dual_lshlrev_b32 v101, 5, v80
	v_add_f32_e32 v13, v105, v106
	s_delay_alu instid0(VALU_DEP_4) | instskip(NEXT) | instid1(VALU_DEP_4)
	v_sub_f32_e32 v116, v1, v11
	v_add_f32_e32 v14, v14, v15
	v_dual_mul_f32 v91, v12, v91 :: v_dual_add_f32 v92, v113, v114
	v_add_f32_e32 v12, v22, v81
	v_fma_f32 v13, -0.5, v13, v22
	v_fmac_f32_e32 v22, -0.5, v16
	s_delay_alu instid0(VALU_DEP_4) | instskip(SKIP_2) | instid1(VALU_DEP_3)
	v_fma_f32 v10, v31, v90, -v91
	v_sub_f32_e32 v90, v112, v113
	v_dual_add_f32 v12, v12, v105 :: v_dual_sub_f32 v97, v114, v28
	v_sub_f32_e32 v120, v10, v9
	v_dual_mul_f32 v85, v19, v85 :: v_dual_add_f32 v36, v109, v110
	v_add_f32_e32 v19, v104, v0
	v_sub_f32_e32 v27, v4, v3
	v_add_f32_e32 v29, v0, v4
	s_delay_alu instid0(VALU_DEP_4) | instskip(SKIP_3) | instid1(VALU_DEP_4)
	v_fma_f32 v7, v34, v84, -v85
	v_sub_f32_e32 v17, v105, v81
	v_sub_f32_e32 v21, v0, v2
	;; [unrolled: 1-line block ×3, first 2 shown]
	v_dual_fmac_f32 v104, -0.5, v29 :: v_dual_add_f32 v87, v6, v7
	v_sub_f32_e32 v125, v5, v8
	v_sub_f32_e32 v81, v81, v107
	;; [unrolled: 1-line block ×3, first 2 shown]
	v_add_f32_e32 v119, v103, v9
	v_dual_add_f32 v2, v19, v2 :: v_dual_add_f32 v19, v32, v108
	v_sub_f32_e32 v37, v108, v109
	v_dual_sub_f32 v89, v8, v7 :: v_dual_add_f32 v32, v94, v113
	s_delay_alu instid0(VALU_DEP_3)
	v_dual_sub_f32 v91, v28, v114 :: v_dual_add_f32 v2, v2, v3
	v_sub_f32_e32 v115, v9, v10
	v_dual_add_f32 v117, v10, v11 :: v_dual_sub_f32 v0, v0, v4
	v_sub_f32_e32 v82, v111, v110
	v_dual_sub_f32 v31, v3, v4 :: v_dual_sub_f32 v16, v10, v11
	v_dual_add_f32 v12, v12, v106 :: v_dual_add_f32 v3, v19, v111
	v_fmamk_f32 v19, v123, 0x3f737871, v22
	v_dual_fmac_f32 v22, 0xbf737871, v123 :: v_dual_sub_f32 v95, v113, v112
	v_dual_add_f32 v10, v119, v10 :: v_dual_add_f32 v33, v108, v111
	v_add_f32_e32 v84, v5, v8
	v_sub_f32_e32 v86, v7, v8
	v_dual_sub_f32 v121, v11, v1 :: v_dual_sub_f32 v34, v109, v108
	s_delay_alu instid0(VALU_DEP_4)
	v_fma_f32 v29, -0.5, v33, v26
	v_dual_fmac_f32 v26, -0.5, v36 :: v_dual_add_f32 v33, v88, v89
	v_fmac_f32_e32 v22, 0x3f167918, v0
	v_dual_fmamk_f32 v88, v81, 0x3f737871, v20 :: v_dual_add_f32 v83, v102, v6
	v_sub_f32_e32 v35, v110, v111
	v_dual_add_f32 v93, v112, v28 :: v_dual_sub_f32 v6, v6, v7
	v_add_f32_e32 v17, v17, v18
	v_add_f32_e32 v18, v21, v27
	;; [unrolled: 1-line block ×3, first 2 shown]
	v_dual_add_f32 v31, v85, v86 :: v_dual_add_f32 v12, v12, v107
	v_fma_f32 v86, -0.5, v84, v102
	v_fmac_f32_e32 v102, -0.5, v87
	v_add_f32_e32 v30, v37, v82
	v_add_f32_e32 v82, v120, v121
	;; [unrolled: 1-line block ×3, first 2 shown]
	v_fmamk_f32 v89, v122, 0xbf737871, v104
	v_fmac_f32_e32 v104, 0x3f737871, v122
	v_fmamk_f32 v83, v125, 0x3f737871, v26
	v_dual_fmac_f32 v26, 0xbf737871, v125 :: v_dual_sub_f32 v109, v109, v110
	v_dual_sub_f32 v112, v112, v28 :: v_dual_sub_f32 v15, v113, v114
	v_add_f32_e32 v10, v10, v11
	s_delay_alu instid0(VALU_DEP_3)
	v_dual_fmac_f32 v26, 0x3f167918, v6 :: v_dual_add_f32 v5, v5, v8
	v_add_f32_e32 v8, v32, v114
	v_fma_f32 v87, -0.5, v117, v103
	v_sub_f32_e32 v9, v9, v1
	v_add_f32_e32 v27, v34, v35
	v_add_f32_e32 v34, v90, v91
	v_fma_f32 v35, -0.5, v92, v23
	v_fmac_f32_e32 v23, -0.5, v93
	v_dual_fmac_f32 v103, -0.5, v118 :: v_dual_fmac_f32 v104, 0xbf167918, v81
	v_fmamk_f32 v11, v0, 0xbf737871, v13
	v_fmac_f32_e32 v13, 0x3f737871, v0
	v_fmac_f32_e32 v20, 0xbf737871, v81
	v_dual_fmamk_f32 v32, v6, 0xbf737871, v29 :: v_dual_fmamk_f32 v91, v124, 0xbf737871, v102
	v_fmac_f32_e32 v102, 0x3f737871, v124
	v_dual_fmamk_f32 v90, v109, 0x3f737871, v86 :: v_dual_fmac_f32 v29, 0x3f737871, v6
	v_fmac_f32_e32 v86, 0xbf737871, v109
	v_fmamk_f32 v92, v112, 0x3f737871, v87
	v_fmamk_f32 v84, v9, 0xbf737871, v35
	v_fmac_f32_e32 v35, 0x3f737871, v9
	v_dual_fmac_f32 v19, 0xbf167918, v0 :: v_dual_fmac_f32 v102, 0xbf167918, v109
	v_dual_add_f32 v0, v2, v4 :: v_dual_fmamk_f32 v85, v16, 0x3f737871, v23
	v_dual_add_f32 v37, v115, v116 :: v_dual_fmac_f32 v88, 0x3f167918, v122
	v_fmac_f32_e32 v23, 0xbf737871, v16
	v_fmac_f32_e32 v87, 0xbf737871, v112
	v_fmamk_f32 v93, v15, 0xbf737871, v103
	v_fmac_f32_e32 v103, 0x3f737871, v15
	v_dual_fmac_f32 v11, 0xbf167918, v123 :: v_dual_fmac_f32 v86, 0xbf167918, v124
	v_dual_fmac_f32 v89, 0x3f167918, v81 :: v_dual_fmac_f32 v92, 0x3f167918, v15
	;; [unrolled: 1-line block ×3, first 2 shown]
	v_fmac_f32_e32 v20, 0xbf167918, v122
	v_dual_fmac_f32 v32, 0xbf167918, v125 :: v_dual_fmac_f32 v83, 0xbf167918, v6
	v_fmac_f32_e32 v84, 0xbf167918, v16
	v_add_f32_e32 v36, v95, v97
	v_fmac_f32_e32 v29, 0x3f167918, v125
	v_fmac_f32_e32 v91, 0x3f167918, v109
	;; [unrolled: 1-line block ×5, first 2 shown]
	v_dual_add_f32 v1, v10, v1 :: v_dual_fmac_f32 v88, 0x3e9e377a, v18
	v_fmac_f32_e32 v87, 0xbf167918, v15
	v_fmac_f32_e32 v93, 0x3f167918, v112
	;; [unrolled: 1-line block ×3, first 2 shown]
	v_dual_fmac_f32 v11, 0x3e9e377a, v14 :: v_dual_fmac_f32 v104, 0x3e9e377a, v21
	v_dual_add_f32 v2, v3, v110 :: v_dual_add_f32 v3, v5, v7
	v_fmac_f32_e32 v22, 0x3e9e377a, v17
	v_dual_fmac_f32 v19, 0x3e9e377a, v17 :: v_dual_fmac_f32 v20, 0x3e9e377a, v18
	v_dual_fmac_f32 v89, 0x3e9e377a, v21 :: v_dual_fmac_f32 v26, 0x3e9e377a, v30
	;; [unrolled: 1-line block ×8, first 2 shown]
	v_add_f32_e32 v4, v8, v28
	v_fmac_f32_e32 v23, 0x3e9e377a, v36
	v_fmac_f32_e32 v87, 0x3e9e377a, v37
	;; [unrolled: 1-line block ×4, first 2 shown]
	ds_store_2addr_b32 v98, v12, v11 offset1:9
	ds_store_2addr_b32 v98, v19, v22 offset0:18 offset1:27
	ds_store_b32 v98, v13 offset:144
	ds_store_2addr_b32 v99, v2, v32 offset1:9
	ds_store_2addr_b32 v99, v83, v26 offset0:18 offset1:27
	ds_store_b32 v99, v29 offset:144
	;; [unrolled: 3-line block ×3, first 2 shown]
	s_waitcnt lgkmcnt(0)
	s_barrier
	buffer_gl0_inv
	ds_load_b32 v81, v53
	ds_load_2addr_b32 v[36:37], v75 offset0:42 offset1:177
	ds_load_2addr_b32 v[28:29], v74 offset0:56 offset1:191
	;; [unrolled: 1-line block ×5, first 2 shown]
	ds_load_b32 v85, v69
	ds_load_b32 v82, v68
	;; [unrolled: 1-line block ×3, first 2 shown]
	ds_load_b32 v84, v53 offset:7560
	s_waitcnt lgkmcnt(0)
	s_barrier
	buffer_gl0_inv
	ds_store_2addr_b32 v98, v0, v88 offset1:9
	ds_store_2addr_b32 v98, v89, v104 offset0:18 offset1:27
	ds_store_b32 v98, v20 offset:144
	ds_store_2addr_b32 v99, v3, v90 offset1:9
	ds_store_2addr_b32 v99, v91, v102 offset0:18 offset1:27
	ds_store_b32 v99, v86 offset:144
	;; [unrolled: 3-line block ×3, first 2 shown]
	v_sub_nc_u16 v0, v51, v96
	v_lshlrev_b32_e32 v1, 5, v78
	s_waitcnt lgkmcnt(0)
	s_barrier
	buffer_gl0_inv
	v_dual_mov_b32 v27, 0 :: v_dual_and_b32 v86, 0xffff, v0
	s_clause 0x2
	global_load_b128 v[20:23], v101, s[4:5] offset:336
	global_load_b128 v[12:15], v1, s[4:5] offset:336
	;; [unrolled: 1-line block ×3, first 2 shown]
	v_lshlrev_b32_e32 v0, 5, v86
	s_clause 0x2
	global_load_b128 v[8:11], v1, s[4:5] offset:352
	global_load_b128 v[4:7], v0, s[4:5] offset:336
	;; [unrolled: 1-line block ×3, first 2 shown]
	v_lshlrev_b32_e32 v86, 2, v86
	v_lshlrev_b32_e32 v98, 2, v80
	v_add_nc_u32_e32 v87, 0xffffffa6, v41
	v_lshlrev_b32_e32 v26, 1, v41
	v_lshrrev_b32_e32 v95, 23, v39
	v_add3_u32 v86, 0, v79, v86
	ds_load_2addr_b32 v[79:80], v72 offset0:28 offset1:163
	v_cndmask_b32_e64 v87, v87, v49, s0
	v_lshlrev_b64 v[89:90], 3, v[26:27]
	v_mov_b32_e32 v92, v27
	v_mul_lo_u16 v95, 0xe1, v95
	v_lshrrev_b32_e32 v88, 23, v38
	ds_load_b32 v96, v69
	v_add_nc_u32_e32 v26, 0x5a, v26
	v_add_co_u32 v38, s0, s4, v89
	s_delay_alu instid0(VALU_DEP_1)
	v_add_co_ci_u32_e64 v39, s0, s5, v90, s0
	s_waitcnt vmcnt(5) lgkmcnt(0)
	v_mul_f32_e32 v101, v96, v21
	s_waitcnt vmcnt(4)
	v_mul_f32_e32 v106, v79, v13
	v_lshlrev_b64 v[93:94], 3, v[26:27]
	v_mul_lo_u16 v26, 0xe1, v88
	v_mul_f32_e32 v21, v85, v21
	v_fmac_f32_e32 v101, v85, v20
	v_fmac_f32_e32 v106, v32, v12
	s_waitcnt vmcnt(1)
	v_mul_f32_e32 v109, v80, v5
	v_mul_f32_e32 v5, v33, v5
	v_sub_nc_u16 v26, v56, v26
	v_fma_f32 v20, v96, v20, -v21
	s_delay_alu instid0(VALU_DEP_4) | instskip(NEXT) | instid1(VALU_DEP_4)
	v_fmac_f32_e32 v109, v33, v4
	v_fma_f32 v4, v80, v4, -v5
	s_delay_alu instid0(VALU_DEP_4) | instskip(NEXT) | instid1(VALU_DEP_1)
	v_dual_mul_f32 v13, v32, v13 :: v_dual_and_b32 v26, 0xffff, v26
	v_fma_f32 v12, v79, v12, -v13
	v_lshlrev_b32_e32 v91, 1, v87
	v_and_b32_e32 v77, 0xffff, v77
	s_delay_alu instid0(VALU_DEP_2)
	v_lshlrev_b64 v[89:90], 3, v[91:92]
	v_mul_u32_u24_e32 v91, 0x384, v76
	v_sub_nc_u16 v92, v57, v95
	v_lshlrev_b32_e32 v95, 2, v78
	v_mul_u32_u24_e32 v97, 0x384, v77
	ds_load_2addr_b32 v[77:78], v74 offset0:56 offset1:191
	ds_load_2addr_b32 v[75:76], v75 offset0:42 offset1:177
	;; [unrolled: 1-line block ×3, first 2 shown]
	v_add3_u32 v91, 0, v91, v95
	v_add3_u32 v95, 0, v97, v98
	ds_load_2addr_b32 v[71:72], v71 offset0:70 offset1:205
	ds_load_b32 v97, v53
	ds_load_b32 v98, v53 offset:7560
	ds_load_b32 v99, v68
	ds_load_b32 v100, v67
	s_waitcnt vmcnt(0) lgkmcnt(0)
	s_barrier
	buffer_gl0_inv
	v_add_co_u32 v89, s0, s4, v89
	s_delay_alu instid0(VALU_DEP_1) | instskip(SKIP_4) | instid1(VALU_DEP_4)
	v_add_co_ci_u32_e64 v90, s0, s5, v90, s0
	v_dual_mul_f32 v110, v77, v7 :: v_dual_mul_f32 v111, v72, v1
	v_mul_f32_e32 v108, v71, v9
	v_mul_f32_e32 v112, v98, v3
	;; [unrolled: 1-line block ×3, first 2 shown]
	v_dual_fmac_f32 v110, v28, v6 :: v_dual_fmac_f32 v111, v31, v0
	s_delay_alu instid0(VALU_DEP_3) | instskip(SKIP_2) | instid1(VALU_DEP_4)
	v_dual_mul_f32 v1, v31, v1 :: v_dual_fmac_f32 v112, v84, v2
	v_mul_f32_e32 v102, v75, v23
	v_mul_f32_e32 v23, v36, v23
	v_sub_f32_e32 v124, v110, v111
	s_delay_alu instid0(VALU_DEP_4)
	v_fma_f32 v0, v72, v0, -v1
	v_add_f32_e32 v84, v109, v112
	v_fma_f32 v1, v98, v2, -v3
	v_mul_f32_e32 v107, v74, v11
	v_fmac_f32_e32 v108, v30, v8
	v_fmac_f32_e32 v102, v36, v22
	v_fma_f32 v21, v75, v22, -v23
	s_delay_alu instid0(VALU_DEP_4) | instskip(SKIP_2) | instid1(VALU_DEP_3)
	v_dual_sub_f32 v118, v0, v1 :: v_dual_fmac_f32 v107, v35, v10
	v_dual_mul_f32 v9, v30, v9 :: v_dual_mul_f32 v104, v73, v19
	v_dual_mul_f32 v19, v34, v19 :: v_dual_sub_f32 v96, v111, v112
	v_sub_f32_e32 v36, v108, v107
	v_mul_f32_e32 v7, v28, v7
	v_sub_f32_e32 v33, v107, v108
	v_fma_f32 v8, v71, v8, -v9
	v_add_f32_e32 v116, v99, v4
	v_sub_f32_e32 v80, v112, v111
	v_fma_f32 v5, v77, v6, -v7
	v_mul_f32_e32 v105, v76, v15
	v_dual_mul_f32 v15, v37, v15 :: v_dual_fmac_f32 v104, v34, v18
	v_sub_f32_e32 v28, v21, v20
	s_delay_alu instid0(VALU_DEP_4)
	v_sub_f32_e32 v98, v4, v5
	v_add_f32_e32 v114, v5, v0
	v_fmac_f32_e32 v105, v37, v14
	v_mul_f32_e32 v11, v35, v11
	v_fma_f32 v14, v76, v14, -v15
	v_sub_f32_e32 v123, v5, v0
	v_add_f32_e32 v15, v97, v20
	v_sub_f32_e32 v122, v105, v108
	v_fma_f32 v10, v74, v10, -v11
	v_mul_f32_e32 v103, v78, v17
	v_mul_f32_e32 v17, v29, v17
	v_sub_f32_e32 v117, v5, v4
	v_add_f32_e32 v5, v116, v5
	s_delay_alu instid0(VALU_DEP_4) | instskip(NEXT) | instid1(VALU_DEP_4)
	v_dual_sub_f32 v76, v8, v10 :: v_dual_fmac_f32 v103, v29, v16
	v_fma_f32 v16, v78, v16, -v17
	v_fma_f32 v17, v73, v18, -v19
	v_sub_f32_e32 v19, v20, v21
	v_sub_f32_e32 v121, v14, v8
	;; [unrolled: 1-line block ×3, first 2 shown]
	s_delay_alu instid0(VALU_DEP_4)
	v_dual_add_f32 v0, v5, v0 :: v_dual_add_f32 v23, v20, v17
	v_sub_f32_e32 v29, v16, v17
	v_sub_f32_e32 v20, v20, v17
	v_add_f32_e32 v2, v81, v101
	v_sub_f32_e32 v6, v101, v102
	v_add_f32_e32 v18, v21, v16
	v_add_f32_e32 v30, v83, v106
	v_dual_sub_f32 v32, v106, v105 :: v_dual_add_f32 v37, v100, v12
	v_dual_sub_f32 v11, v102, v101 :: v_dual_sub_f32 v72, v12, v14
	v_add_f32_e32 v74, v12, v10
	v_add_f32_e32 v2, v2, v102
	;; [unrolled: 1-line block ×3, first 2 shown]
	v_sub_f32_e32 v85, v110, v109
	v_dual_add_f32 v0, v0, v1 :: v_dual_sub_f32 v75, v14, v12
	v_sub_f32_e32 v12, v12, v10
	v_add_f32_e32 v115, v4, v1
	v_sub_f32_e32 v4, v4, v1
	v_sub_f32_e32 v7, v104, v103
	;; [unrolled: 1-line block ×3, first 2 shown]
	v_add_f32_e32 v3, v102, v103
	v_dual_add_f32 v9, v101, v104 :: v_dual_add_f32 v2, v2, v103
	v_sub_f32_e32 v22, v17, v16
	v_add_f32_e32 v71, v14, v8
	v_sub_f32_e32 v120, v21, v16
	v_dual_add_f32 v6, v6, v7 :: v_dual_add_f32 v15, v15, v21
	v_dual_add_f32 v14, v37, v14 :: v_dual_add_f32 v7, v11, v13
	v_fma_f32 v11, -0.5, v18, v97
	v_dual_add_f32 v18, v32, v33 :: v_dual_sub_f32 v35, v105, v106
	v_add_f32_e32 v21, v30, v105
	v_add_f32_e32 v31, v105, v108
	v_dual_add_f32 v13, v28, v29 :: v_dual_add_f32 v28, v75, v76
	v_fma_f32 v3, -0.5, v3, v81
	v_fmac_f32_e32 v81, -0.5, v9
	v_add_f32_e32 v15, v15, v16
	v_dual_add_f32 v16, v21, v108 :: v_dual_add_f32 v9, v19, v22
	v_add_f32_e32 v22, v35, v36
	v_add_f32_e32 v36, v117, v118
	;; [unrolled: 1-line block ×3, first 2 shown]
	v_fma_f32 v19, -0.5, v31, v83
	v_fma_f32 v35, -0.5, v114, v99
	v_dual_sub_f32 v79, v109, v110 :: v_dual_add_f32 v2, v2, v104
	s_delay_alu instid0(VALU_DEP_4)
	v_fma_f32 v31, -0.5, v78, v82
	v_fmac_f32_e32 v82, -0.5, v84
	v_add_f32_e32 v34, v106, v107
	v_sub_f32_e32 v73, v10, v8
	v_sub_f32_e32 v106, v106, v107
	v_add_f32_e32 v8, v14, v8
	v_dual_fmamk_f32 v76, v123, 0x3f737871, v82 :: v_dual_fmac_f32 v97, -0.5, v23
	s_delay_alu instid0(VALU_DEP_4)
	v_add_f32_e32 v23, v72, v73
	v_fmac_f32_e32 v83, -0.5, v34
	v_fma_f32 v34, -0.5, v71, v100
	v_fmac_f32_e32 v100, -0.5, v74
	v_add_f32_e32 v16, v16, v107
	v_add_f32_e32 v32, v85, v96
	v_fmac_f32_e32 v76, 0xbf167918, v4
	v_fmamk_f32 v73, v106, 0x3f737871, v34
	v_fmac_f32_e32 v34, 0xbf737871, v106
	v_fmamk_f32 v74, v122, 0xbf737871, v100
	s_delay_alu instid0(VALU_DEP_4) | instskip(SKIP_1) | instid1(VALU_DEP_4)
	v_dual_sub_f32 v119, v102, v103 :: v_dual_fmac_f32 v76, 0x3e9e377a, v32
	v_fmamk_f32 v21, v20, 0xbf737871, v3
	v_fmac_f32_e32 v34, 0xbf167918, v122
	s_delay_alu instid0(VALU_DEP_4) | instskip(SKIP_3) | instid1(VALU_DEP_4)
	v_fmac_f32_e32 v74, 0x3f167918, v106
	v_dual_add_f32 v8, v8, v10 :: v_dual_fmac_f32 v3, 0x3f737871, v20
	v_fmamk_f32 v75, v4, 0xbf737871, v31
	v_fmac_f32_e32 v31, 0x3f737871, v4
	v_fmac_f32_e32 v74, 0x3e9e377a, v28
	;; [unrolled: 1-line block ×3, first 2 shown]
	v_fmamk_f32 v72, v121, 0x3f737871, v83
	v_dual_fmac_f32 v83, 0xbf737871, v121 :: v_dual_fmac_f32 v82, 0xbf737871, v123
	v_fmac_f32_e32 v100, 0x3f737871, v122
	v_fmac_f32_e32 v21, 0xbf167918, v120
	s_delay_alu instid0(VALU_DEP_4) | instskip(SKIP_3) | instid1(VALU_DEP_4)
	v_dual_fmac_f32 v72, 0xbf167918, v12 :: v_dual_fmac_f32 v99, -0.5, v115
	v_add_f32_e32 v29, v79, v80
	v_fmac_f32_e32 v83, 0x3f167918, v12
	v_dual_sub_f32 v101, v101, v104 :: v_dual_fmac_f32 v100, 0xbf167918, v106
	v_fmamk_f32 v78, v124, 0xbf737871, v99
	v_dual_add_f32 v30, v77, v110 :: v_dual_fmac_f32 v31, 0x3f167918, v123
	v_dual_fmac_f32 v82, 0x3f167918, v4 :: v_dual_fmac_f32 v73, 0x3f167918, v122
	v_fmac_f32_e32 v75, 0xbf167918, v123
	s_delay_alu instid0(VALU_DEP_3) | instskip(SKIP_3) | instid1(VALU_DEP_4)
	v_add_f32_e32 v14, v30, v111
	v_fmamk_f32 v30, v12, 0xbf737871, v19
	v_dual_fmac_f32 v19, 0x3f737871, v12 :: v_dual_lshlrev_b32 v12, 4, v26
	v_lshlrev_b32_e32 v26, 2, v26
	v_add_f32_e32 v10, v14, v112
	s_delay_alu instid0(VALU_DEP_4) | instskip(SKIP_3) | instid1(VALU_DEP_4)
	v_dual_fmac_f32 v30, 0xbf167918, v121 :: v_dual_sub_f32 v109, v109, v112
	v_fmamk_f32 v5, v120, 0x3f737871, v81
	v_fmac_f32_e32 v81, 0xbf737871, v120
	v_fmac_f32_e32 v3, 0x3f167918, v120
	;; [unrolled: 1-line block ×3, first 2 shown]
	v_fmamk_f32 v77, v109, 0x3f737871, v35
	v_fmac_f32_e32 v35, 0xbf737871, v109
	v_fmac_f32_e32 v5, 0xbf167918, v20
	;; [unrolled: 1-line block ×3, first 2 shown]
	v_dual_add_f32 v33, v98, v113 :: v_dual_fmac_f32 v100, 0x3e9e377a, v28
	v_fmac_f32_e32 v19, 0x3f167918, v121
	v_fmac_f32_e32 v77, 0x3f167918, v124
	;; [unrolled: 1-line block ×7, first 2 shown]
	v_fmamk_f32 v37, v101, 0x3f737871, v11
	v_fmac_f32_e32 v78, 0x3f167918, v109
	v_fmamk_f32 v71, v119, 0xbf737871, v97
	v_fmac_f32_e32 v97, 0x3f737871, v119
	v_fmac_f32_e32 v72, 0x3e9e377a, v22
	;; [unrolled: 1-line block ×3, first 2 shown]
	v_dual_fmac_f32 v31, 0x3e9e377a, v29 :: v_dual_fmac_f32 v82, 0x3e9e377a, v32
	v_fmac_f32_e32 v19, 0x3e9e377a, v18
	v_fmac_f32_e32 v73, 0x3e9e377a, v23
	v_fmac_f32_e32 v75, 0x3e9e377a, v29
	v_fmac_f32_e32 v77, 0x3e9e377a, v33
	v_fmac_f32_e32 v35, 0x3e9e377a, v33
	ds_store_2addr_b32 v95, v2, v21 offset1:45
	ds_store_2addr_b32 v95, v5, v81 offset0:90 offset1:135
	ds_store_b32 v95, v3 offset:720
	ds_store_2addr_b32 v91, v16, v30 offset1:45
	ds_store_2addr_b32 v91, v72, v83 offset0:90 offset1:135
	ds_store_b32 v91, v19 offset:720
	;; [unrolled: 3-line block ×3, first 2 shown]
	s_waitcnt lgkmcnt(0)
	s_barrier
	buffer_gl0_inv
	ds_load_2addr_b32 v[20:21], v58 offset0:35 offset1:170
	ds_load_2addr_b32 v[22:23], v59 offset0:63 offset1:198
	;; [unrolled: 1-line block ×5, first 2 shown]
	ds_load_b32 v79, v53
	ds_load_b32 v80, v67
	;; [unrolled: 1-line block ×5, first 2 shown]
	v_fmac_f32_e32 v11, 0xbf737871, v101
	v_fmac_f32_e32 v99, 0x3f737871, v124
	;; [unrolled: 1-line block ×6, first 2 shown]
	v_add_f32_e32 v15, v15, v17
	v_fmac_f32_e32 v99, 0xbf167918, v109
	v_fmac_f32_e32 v37, 0x3e9e377a, v9
	v_fmac_f32_e32 v71, 0x3e9e377a, v13
	v_fmac_f32_e32 v97, 0x3e9e377a, v13
	v_dual_fmac_f32 v11, 0x3e9e377a, v9 :: v_dual_fmac_f32 v78, 0x3e9e377a, v36
	v_fmac_f32_e32 v99, 0x3e9e377a, v36
	s_waitcnt lgkmcnt(0)
	s_barrier
	buffer_gl0_inv
	ds_store_2addr_b32 v95, v15, v37 offset1:45
	ds_store_2addr_b32 v95, v71, v97 offset0:90 offset1:135
	ds_store_b32 v95, v11 offset:720
	ds_store_2addr_b32 v91, v8, v73 offset1:45
	ds_store_2addr_b32 v91, v74, v100 offset0:90 offset1:135
	ds_store_b32 v91, v34 offset:720
	;; [unrolled: 3-line block ×3, first 2 shown]
	v_add_co_u32 v8, s0, s4, v93
	s_delay_alu instid0(VALU_DEP_1)
	v_add_co_ci_u32_e64 v9, s0, s5, v94, s0
	v_and_b32_e32 v71, 0xffff, v92
	s_waitcnt lgkmcnt(0)
	s_barrier
	buffer_gl0_inv
	s_clause 0x1
	global_load_b128 v[0:3], v[38:39], off offset:1776
	global_load_b128 v[8:11], v[8:9], off offset:1776
	v_lshlrev_b32_e32 v16, 4, v71
	s_clause 0x2
	global_load_b128 v[4:7], v[89:90], off offset:1776
	global_load_b128 v[12:15], v12, s[4:5] offset:1776
	global_load_b128 v[16:19], v16, s[4:5] offset:1776
	v_cmp_lt_u32_e64 s0, 0x59, v41
	v_lshlrev_b32_e32 v74, 2, v87
	v_lshl_add_u32 v84, v71, 2, 0
	ds_load_2addr_b32 v[71:72], v60 offset0:77 offset1:212
	v_mul_u32_u24_e32 v75, 0xa8c, v88
	v_cndmask_b32_e64 v73, 0, 0xa8c, s0
	ds_load_2addr_b32 v[34:35], v58 offset0:35 offset1:170
	ds_load_2addr_b32 v[36:37], v59 offset0:63 offset1:198
	v_lshl_add_u32 v77, v41, 2, 0
	v_add3_u32 v26, 0, v75, v26
	v_add3_u32 v85, 0, v73, v74
	ds_load_2addr_b32 v[73:74], v62 offset0:49 offset1:184
	ds_load_b32 v87, v53
	ds_load_2addr_b32 v[75:76], v64 offset0:91 offset1:226
	ds_load_b32 v88, v67
	ds_load_b32 v89, v68
	;; [unrolled: 1-line block ×4, first 2 shown]
	v_add_nc_u32_e32 v78, 0xb00, v77
	v_add_nc_u32_e32 v86, 0x1500, v84
	s_waitcnt vmcnt(0) lgkmcnt(0)
	s_barrier
	buffer_gl0_inv
	v_mul_f32_e32 v92, v34, v1
	v_dual_mul_f32 v96, v73, v9 :: v_dual_mul_f32 v97, v72, v11
	v_mul_f32_e32 v94, v35, v5
	v_mul_f32_e32 v5, v21, v5
	v_dual_mul_f32 v98, v74, v13 :: v_dual_mul_f32 v99, v75, v15
	s_delay_alu instid0(VALU_DEP_4) | instskip(NEXT) | instid1(VALU_DEP_4)
	v_dual_fmac_f32 v97, v29, v10 :: v_dual_fmac_f32 v96, v30, v8
	v_dual_mul_f32 v101, v76, v19 :: v_dual_fmac_f32 v94, v21, v4
	s_delay_alu instid0(VALU_DEP_3) | instskip(NEXT) | instid1(VALU_DEP_3)
	v_dual_fmac_f32 v98, v31, v12 :: v_dual_fmac_f32 v99, v32, v14
	v_add_f32_e32 v21, v96, v97
	v_mul_f32_e32 v1, v20, v1
	v_mul_f32_e32 v93, v37, v3
	;; [unrolled: 1-line block ×4, first 2 shown]
	v_dual_mul_f32 v100, v36, v17 :: v_dual_mul_f32 v19, v33, v19
	v_dual_fmac_f32 v92, v20, v0 :: v_dual_fmac_f32 v101, v33, v18
	v_dual_add_f32 v20, v81, v96 :: v_dual_sub_f32 v33, v98, v99
	v_mul_f32_e32 v95, v71, v7
	v_mul_f32_e32 v7, v28, v7
	v_fmac_f32_e32 v81, -0.5, v21
	v_mul_f32_e32 v3, v23, v3
	v_fma_f32 v0, v34, v0, -v1
	v_dual_fmac_f32 v95, v28, v6 :: v_dual_fmac_f32 v100, v22, v16
	v_fmac_f32_e32 v93, v23, v2
	s_delay_alu instid0(VALU_DEP_4)
	v_fma_f32 v1, v37, v2, -v3
	v_fma_f32 v3, v71, v6, -v7
	;; [unrolled: 1-line block ×5, first 2 shown]
	v_dual_add_f32 v35, v100, v101 :: v_dual_add_f32 v12, v87, v0
	s_delay_alu instid0(VALU_DEP_4) | instskip(NEXT) | instid1(VALU_DEP_4)
	v_add_f32_e32 v32, v90, v6
	v_sub_f32_e32 v31, v6, v7
	v_mul_f32_e32 v9, v30, v9
	v_add_f32_e32 v30, v98, v99
	v_dual_add_f32 v34, v83, v100 :: v_dual_fmac_f32 v83, -0.5, v35
	v_mul_f32_e32 v11, v29, v11
	v_add_f32_e32 v29, v82, v98
	s_delay_alu instid0(VALU_DEP_4) | instskip(SKIP_1) | instid1(VALU_DEP_4)
	v_dual_fmac_f32 v82, -0.5, v30 :: v_dual_mul_f32 v17, v22, v17
	v_add_f32_e32 v6, v6, v7
	v_fma_f32 v4, v72, v10, -v11
	v_add_f32_e32 v10, v92, v93
	v_sub_f32_e32 v11, v0, v1
	v_add_f32_e32 v0, v0, v1
	v_add_f32_e32 v72, v12, v1
	;; [unrolled: 1-line block ×3, first 2 shown]
	v_dual_add_f32 v20, v32, v7 :: v_dual_fmamk_f32 v7, v31, 0xbf5db3d7, v82
	v_fmac_f32_e32 v82, 0x3f5db3d7, v31
	v_fma_f32 v5, v73, v8, -v9
	v_fma_f32 v8, v36, v16, -v17
	v_add_f32_e32 v16, v94, v95
	v_fma_f32 v15, v76, v18, -v19
	v_dual_add_f32 v9, v79, v92 :: v_dual_add_f32 v18, v88, v2
	v_add_f32_e32 v23, v89, v5
	v_fmac_f32_e32 v79, -0.5, v10
	v_dual_add_f32 v14, v80, v94 :: v_dual_sub_f32 v17, v2, v3
	v_sub_f32_e32 v22, v5, v4
	v_add_f32_e32 v5, v5, v4
	v_fmac_f32_e32 v80, -0.5, v16
	v_add_f32_e32 v2, v2, v3
	v_dual_sub_f32 v36, v8, v15 :: v_dual_add_f32 v37, v91, v8
	v_add_f32_e32 v8, v8, v15
	v_sub_f32_e32 v13, v92, v93
	v_add_f32_e32 v9, v9, v93
	v_dual_fmac_f32 v87, -0.5, v0 :: v_dual_add_f32 v16, v18, v3
	v_add_f32_e32 v18, v23, v4
	v_fmamk_f32 v4, v11, 0xbf5db3d7, v79
	v_fmac_f32_e32 v79, 0x3f5db3d7, v11
	v_dual_add_f32 v0, v14, v95 :: v_dual_fmac_f32 v89, -0.5, v5
	v_fmamk_f32 v5, v17, 0xbf5db3d7, v80
	v_fmac_f32_e32 v80, 0x3f5db3d7, v17
	v_fmac_f32_e32 v88, -0.5, v2
	v_add_f32_e32 v2, v29, v99
	v_dual_fmac_f32 v90, -0.5, v6 :: v_dual_add_f32 v3, v34, v101
	v_fmac_f32_e32 v91, -0.5, v8
	v_fmamk_f32 v8, v36, 0xbf5db3d7, v83
	v_fmamk_f32 v6, v22, 0xbf5db3d7, v81
	;; [unrolled: 1-line block ×3, first 2 shown]
	v_fmac_f32_e32 v87, 0xbf5db3d7, v13
	v_fmac_f32_e32 v81, 0x3f5db3d7, v22
	;; [unrolled: 1-line block ×3, first 2 shown]
	ds_store_2addr_b32 v53, v9, v4 offset1:225
	ds_store_b32 v53, v79 offset:1800
	ds_store_2addr_b32 v85, v0, v5 offset1:225
	ds_store_b32 v85, v80 offset:1800
	ds_store_2addr_b32 v78, v1, v6 offset0:16 offset1:241
	ds_store_b32 v77, v81 offset:4680
	ds_store_2addr_b32 v26, v2, v7 offset1:225
	ds_store_b32 v26, v82 offset:1800
	ds_store_2addr_b32 v86, v3, v8 offset0:6 offset1:231
	ds_store_b32 v84, v83 offset:7200
	s_waitcnt lgkmcnt(0)
	s_barrier
	buffer_gl0_inv
	ds_load_2addr_b32 v[0:1], v58 offset0:35 offset1:170
	ds_load_2addr_b32 v[2:3], v59 offset0:63 offset1:198
	;; [unrolled: 1-line block ×5, first 2 shown]
	ds_load_b32 v10, v53
	ds_load_b32 v11, v67
	;; [unrolled: 1-line block ×5, first 2 shown]
	v_dual_sub_f32 v19, v94, v95 :: v_dual_sub_f32 v28, v96, v97
	v_dual_sub_f32 v71, v100, v101 :: v_dual_fmamk_f32 v22, v33, 0x3f5db3d7, v90
	v_fmac_f32_e32 v90, 0xbf5db3d7, v33
	s_delay_alu instid0(VALU_DEP_3)
	v_fmamk_f32 v17, v19, 0x3f5db3d7, v88
	v_fmac_f32_e32 v88, 0xbf5db3d7, v19
	v_fmamk_f32 v19, v28, 0x3f5db3d7, v89
	v_fmac_f32_e32 v89, 0xbf5db3d7, v28
	v_add_f32_e32 v15, v37, v15
	v_fmamk_f32 v23, v71, 0x3f5db3d7, v91
	v_fmac_f32_e32 v91, 0xbf5db3d7, v71
	s_waitcnt lgkmcnt(0)
	s_barrier
	buffer_gl0_inv
	ds_store_2addr_b32 v53, v72, v21 offset1:225
	ds_store_b32 v53, v87 offset:1800
	ds_store_2addr_b32 v85, v16, v17 offset1:225
	ds_store_b32 v85, v88 offset:1800
	ds_store_2addr_b32 v78, v18, v19 offset0:16 offset1:241
	ds_store_b32 v77, v89 offset:4680
	ds_store_2addr_b32 v26, v20, v22 offset1:225
	ds_store_b32 v26, v90 offset:1800
	ds_store_2addr_b32 v86, v15, v23 offset0:6 offset1:231
	ds_store_b32 v84, v91 offset:7200
	s_waitcnt lgkmcnt(0)
	s_barrier
	buffer_gl0_inv
	s_and_saveexec_b32 s0, vcc_lo
	s_cbranch_execz .LBB0_15
; %bb.14:
	v_sub_nc_u32_e32 v75, 0, v65
	v_sub_nc_u32_e32 v76, 0, v66
	v_mad_u64_u32 v[65:66], null, s8, v41, 0
	v_lshlrev_b32_e32 v26, 1, v57
	v_mad_u64_u32 v[67:68], null, s8, v48, 0
	v_mad_u64_u32 v[71:72], null, s8, v46, 0
	s_delay_alu instid0(VALU_DEP_3)
	v_lshlrev_b64 v[15:16], 3, v[26:27]
	v_lshlrev_b32_e32 v26, 1, v56
	v_mad_u64_u32 v[73:74], null, s8, v45, 0
	v_add_nc_u32_e32 v54, v54, v75
	v_mad_u64_u32 v[69:70], null, s8, v43, 0
	v_add_co_u32 v15, vcc_lo, s4, v15
	v_add_co_ci_u32_e32 v16, vcc_lo, s5, v16, vcc_lo
	v_lshlrev_b64 v[19:20], 3, v[26:27]
	s_delay_alu instid0(VALU_DEP_3)
	v_add_co_u32 v15, vcc_lo, 0x1000, v15
	v_lshlrev_b32_e32 v26, 1, v51
	v_sub_nc_u32_e32 v51, 0, v63
	v_add_co_ci_u32_e32 v16, vcc_lo, 0, v16, vcc_lo
	v_add_co_u32 v19, vcc_lo, s4, v19
	v_add_co_ci_u32_e32 v20, vcc_lo, s5, v20, vcc_lo
	s_delay_alu instid0(VALU_DEP_4)
	v_dual_mov_b32 v52, v74 :: v_dual_add_nc_u32 v75, v52, v51
	v_mov_b32_e32 v51, v72
	v_lshlrev_b64 v[28:29], 3, v[26:27]
	v_add_co_u32 v19, vcc_lo, 0x1000, v19
	v_add_co_ci_u32_e32 v20, vcc_lo, 0, v20, vcc_lo
	v_lshlrev_b32_e32 v26, 1, v49
	s_delay_alu instid0(VALU_DEP_4) | instskip(SKIP_1) | instid1(VALU_DEP_3)
	v_add_co_u32 v23, vcc_lo, s4, v28
	v_add_co_ci_u32_e32 v29, vcc_lo, s5, v29, vcc_lo
	v_lshlrev_b64 v[30:31], 3, v[26:27]
	s_delay_alu instid0(VALU_DEP_3) | instskip(NEXT) | instid1(VALU_DEP_3)
	v_add_co_u32 v28, vcc_lo, 0x1000, v23
	v_add_co_ci_u32_e32 v29, vcc_lo, 0, v29, vcc_lo
	s_clause 0x1
	global_load_b128 v[15:18], v[15:16], off offset:1280
	global_load_b128 v[19:22], v[19:20], off offset:1280
	v_add_co_u32 v23, vcc_lo, s4, v30
	global_load_b128 v[26:29], v[28:29], off offset:1280
	v_add_co_ci_u32_e32 v31, vcc_lo, s5, v31, vcc_lo
	v_add_co_u32 v30, vcc_lo, 0x1000, v23
	v_mul_hi_u32 v77, 0xc22e4507, v42
	s_delay_alu instid0(VALU_DEP_3)
	v_add_co_ci_u32_e32 v31, vcc_lo, 0, v31, vcc_lo
	v_add_co_u32 v34, vcc_lo, 0x1000, v38
	v_add_co_ci_u32_e32 v35, vcc_lo, 0, v39, vcc_lo
	s_clause 0x1
	global_load_b128 v[30:33], v[30:31], off offset:1280
	global_load_b128 v[34:37], v[34:35], off offset:1280
	v_mul_hi_u32 v78, 0xc22e4507, v40
	v_mul_hi_u32 v79, 0xc22e4507, v44
	v_sub_nc_u32_e32 v49, 0, v61
	ds_load_2addr_b32 v[38:39], v59 offset0:63 offset1:198
	ds_load_2addr_b32 v[56:57], v64 offset0:91 offset1:226
	;; [unrolled: 1-line block ×5, first 2 shown]
	v_add_co_u32 v58, vcc_lo, s10, v24
	v_add_co_ci_u32_e32 v86, vcc_lo, s11, v25, vcc_lo
	v_mad_u64_u32 v[23:24], null, s8, v47, 0
	v_mov_b32_e32 v25, v66
	v_add_nc_u32_e32 v55, v55, v76
	v_dual_mov_b32 v49, v68 :: v_dual_add_nc_u32 v76, v50, v49
	v_mov_b32_e32 v50, v70
	v_lshrrev_b32_e32 v66, 9, v77
	v_lshrrev_b32_e32 v68, 9, v78
	;; [unrolled: 1-line block ×3, first 2 shown]
	ds_load_b32 v87, v54
	ds_load_b32 v88, v75
	ds_load_b32 v89, v76
	ds_load_b32 v90, v55
	ds_load_b32 v91, v53
	v_mad_u64_u32 v[74:75], null, s9, v48, v[49:50]
	v_mad_u32_u24 v81, 0x546, v68, v40
	v_mad_u32_u24 v82, 0x546, v70, v44
	s_delay_alu instid0(VALU_DEP_1) | instskip(NEXT) | instid1(VALU_DEP_1)
	v_dual_mov_b32 v68, v74 :: v_dual_add_nc_u32 v93, 0x2a3, v82
	v_mad_u64_u32 v[75:76], null, s8, v93, 0
	s_delay_alu instid0(VALU_DEP_2)
	v_lshlrev_b64 v[67:68], 3, v[67:68]
	s_waitcnt vmcnt(2)
	v_mad_u64_u32 v[53:54], null, s9, v41, v[25:26]
	v_mad_u64_u32 v[54:55], null, s9, v47, v[24:25]
	v_mad_u32_u24 v55, 0x546, v66, v42
	v_mad_u64_u32 v[47:48], null, s9, v43, v[50:51]
	v_mad_u64_u32 v[48:49], null, s9, v46, v[51:52]
	;; [unrolled: 1-line block ×3, first 2 shown]
	s_delay_alu instid0(VALU_DEP_4)
	v_mad_u64_u32 v[42:43], null, s8, v55, 0
	v_mad_u64_u32 v[44:45], null, s8, v81, 0
	v_mad_u64_u32 v[49:50], null, s8, v82, 0
	v_dual_mov_b32 v66, v53 :: v_dual_add_nc_u32 v83, 0x2a3, v55
	v_add_nc_u32_e32 v84, 0x546, v55
	v_dual_mov_b32 v24, v54 :: v_dual_add_nc_u32 v85, 0x2a3, v81
	v_mov_b32_e32 v70, v47
	v_mov_b32_e32 v74, v41
	v_mad_u64_u32 v[40:41], null, s8, v83, 0
	v_mov_b32_e32 v25, v43
	v_mov_b32_e32 v43, v45
	;; [unrolled: 1-line block ×3, first 2 shown]
	v_mad_u64_u32 v[46:47], null, s8, v84, 0
	v_add_nc_u32_e32 v92, 0x546, v81
	v_mad_u64_u32 v[51:52], null, s8, v85, 0
	v_lshlrev_b64 v[65:66], 3, v[65:66]
	v_add_nc_u32_e32 v94, 0x546, v82
	v_mad_u64_u32 v[79:80], null, s9, v55, v[25:26]
	v_mov_b32_e32 v25, v41
	v_mov_b32_e32 v41, v47
	v_mad_u64_u32 v[53:54], null, s8, v92, 0
	v_lshlrev_b64 v[23:24], 3, v[23:24]
	v_mov_b32_e32 v72, v48
	v_mad_u64_u32 v[47:48], null, s9, v81, v[43:44]
	v_mov_b32_e32 v43, v52
	v_mad_u64_u32 v[77:78], null, s8, v94, 0
	v_add_co_u32 v65, vcc_lo, v58, v65
	v_mad_u64_u32 v[80:81], null, s9, v83, v[25:26]
	v_add_co_ci_u32_e32 v66, vcc_lo, v86, v66, vcc_lo
	v_mov_b32_e32 v48, v54
	v_mad_u64_u32 v[54:55], null, s9, v82, v[45:46]
	v_mov_b32_e32 v45, v76
	v_lshlrev_b64 v[69:70], 3, v[69:70]
	v_add_co_u32 v23, vcc_lo, v58, v23
	v_add_co_ci_u32_e32 v24, vcc_lo, v86, v24, vcc_lo
	v_mad_u64_u32 v[81:82], null, s9, v84, v[41:42]
	v_mov_b32_e32 v41, v80
	v_add_co_u32 v67, vcc_lo, v58, v67
	v_mad_u64_u32 v[82:83], null, s9, v85, v[43:44]
	v_mov_b32_e32 v43, v79
	v_lshlrev_b64 v[71:72], 3, v[71:72]
	v_mov_b32_e32 v50, v78
	v_add_co_ci_u32_e32 v68, vcc_lo, v86, v68, vcc_lo
	v_mad_u64_u32 v[83:84], null, s9, v92, v[48:49]
	v_add_co_u32 v69, vcc_lo, v58, v69
	v_mad_u64_u32 v[84:85], null, s9, v93, v[45:46]
	v_mov_b32_e32 v45, v47
	v_mov_b32_e32 v47, v81
	v_lshlrev_b64 v[73:74], 3, v[73:74]
	v_add_co_ci_u32_e32 v70, vcc_lo, v86, v70, vcc_lo
	v_add_co_u32 v71, vcc_lo, v58, v71
	v_lshlrev_b64 v[42:43], 3, v[42:43]
	v_mad_u64_u32 v[78:79], null, s9, v94, v[50:51]
	v_mov_b32_e32 v50, v54
	v_add_co_ci_u32_e32 v72, vcc_lo, v86, v72, vcc_lo
	v_add_co_u32 v73, vcc_lo, v58, v73
	v_lshlrev_b64 v[44:45], 3, v[44:45]
	v_add_co_ci_u32_e32 v74, vcc_lo, v86, v74, vcc_lo
	v_lshlrev_b64 v[48:49], 3, v[49:50]
	v_add_co_u32 v42, vcc_lo, v58, v42
	v_add_co_ci_u32_e32 v43, vcc_lo, v86, v43, vcc_lo
	v_lshlrev_b64 v[40:41], 3, v[40:41]
	v_add_co_u32 v44, vcc_lo, v58, v44
	v_mov_b32_e32 v52, v82
	v_add_co_ci_u32_e32 v45, vcc_lo, v86, v45, vcc_lo
	v_lshlrev_b64 v[46:47], 3, v[46:47]
	v_add_co_u32 v48, vcc_lo, v58, v48
	v_dual_mov_b32 v54, v83 :: v_dual_mul_f32 v25, v2, v16
	v_add_co_ci_u32_e32 v49, vcc_lo, v86, v49, vcc_lo
	v_mov_b32_e32 v76, v84
	v_lshlrev_b64 v[50:51], 3, v[51:52]
	v_add_co_u32 v40, vcc_lo, v58, v40
	v_add_co_ci_u32_e32 v41, vcc_lo, v86, v41, vcc_lo
	v_lshlrev_b64 v[52:53], 3, v[53:54]
	v_add_co_u32 v46, vcc_lo, v58, v46
	v_lshlrev_b64 v[54:55], 3, v[75:76]
	v_lshlrev_b64 v[75:76], 3, v[77:78]
	v_add_co_ci_u32_e32 v47, vcc_lo, v86, v47, vcc_lo
	v_mul_f32_e32 v77, v9, v18
	s_waitcnt lgkmcnt(9)
	v_fma_f32 v25, v38, v15, -v25
	v_mul_f32_e32 v16, v38, v16
	s_waitcnt lgkmcnt(8)
	v_mul_f32_e32 v18, v57, v18
	v_add_co_u32 v50, vcc_lo, v58, v50
	v_add_co_ci_u32_e32 v51, vcc_lo, v86, v51, vcc_lo
	v_add_co_u32 v52, vcc_lo, v58, v52
	v_fma_f32 v38, v57, v17, -v77
	s_waitcnt lgkmcnt(1)
	v_add_f32_e32 v57, v90, v25
	v_fmac_f32_e32 v16, v2, v15
	v_fmac_f32_e32 v18, v9, v17
	v_dual_mul_f32 v2, v7, v20 :: v_dual_mul_f32 v9, v8, v22
	v_dual_mul_f32 v17, v62, v20 :: v_dual_mul_f32 v20, v56, v22
	v_add_co_ci_u32_e32 v53, vcc_lo, v86, v53, vcc_lo
	v_add_co_u32 v54, vcc_lo, v58, v54
	v_add_co_ci_u32_e32 v55, vcc_lo, v86, v55, vcc_lo
	v_add_co_u32 v75, vcc_lo, v58, v75
	v_add_f32_e32 v15, v25, v38
	v_sub_f32_e32 v25, v25, v38
	v_fma_f32 v2, v62, v19, -v2
	v_fma_f32 v9, v56, v21, -v9
	v_dual_fmac_f32 v17, v7, v19 :: v_dual_sub_f32 v22, v16, v18
	v_add_f32_e32 v58, v16, v18
	v_add_f32_e32 v16, v14, v16
	v_dual_fmac_f32 v20, v8, v21 :: v_dual_mul_f32 v19, v6, v27
	v_mul_f32_e32 v21, v5, v29
	v_mul_f32_e32 v27, v61, v27
	;; [unrolled: 1-line block ×3, first 2 shown]
	v_fma_f32 v8, -0.5, v15, v90
	v_add_f32_e32 v15, v57, v38
	s_delay_alu instid0(VALU_DEP_4)
	v_dual_sub_f32 v38, v17, v20 :: v_dual_fmac_f32 v27, v6, v26
	v_add_f32_e32 v56, v17, v20
	v_add_f32_e32 v57, v13, v17
	v_fma_f32 v7, -0.5, v58, v14
	v_dual_add_f32 v14, v16, v18 :: v_dual_fmac_f32 v29, v5, v28
	v_add_f32_e32 v16, v2, v9
	s_delay_alu instid0(VALU_DEP_3)
	v_dual_add_f32 v18, v87, v2 :: v_dual_fmamk_f32 v5, v25, 0x3f5db3d7, v7
	v_fma_f32 v58, v61, v26, -v19
	v_fma_f32 v21, v60, v28, -v21
	s_waitcnt vmcnt(0)
	v_dual_mul_f32 v26, v1, v31 :: v_dual_mul_f32 v61, v3, v37
	v_mul_f32_e32 v31, v64, v31
	v_mul_f32_e32 v28, v4, v33
	v_dual_mul_f32 v33, v59, v33 :: v_dual_mul_f32 v60, v0, v35
	v_mul_f32_e32 v37, v39, v37
	v_dual_sub_f32 v2, v2, v9 :: v_dual_mul_f32 v35, v63, v35
	v_dual_fmamk_f32 v6, v22, 0xbf5db3d7, v8 :: v_dual_fmac_f32 v7, 0xbf5db3d7, v25
	v_dual_fmac_f32 v8, 0x3f5db3d7, v22 :: v_dual_add_f32 v19, v18, v9
	v_fma_f32 v17, -0.5, v16, v87
	v_fma_f32 v16, -0.5, v56, v13
	v_dual_add_f32 v18, v57, v20 :: v_dual_add_f32 v9, v58, v21
	v_dual_sub_f32 v20, v27, v29 :: v_dual_add_f32 v13, v88, v58
	v_dual_add_f32 v22, v27, v29 :: v_dual_add_f32 v27, v12, v27
	v_fma_f32 v26, v64, v30, -v26
	v_fmac_f32_e32 v31, v1, v30
	v_fma_f32 v28, v59, v32, -v28
	v_fmac_f32_e32 v33, v4, v32
	v_fma_f32 v4, v63, v34, -v60
	v_fma_f32 v30, v39, v36, -v61
	v_fmac_f32_e32 v35, v0, v34
	v_fmac_f32_e32 v37, v3, v36
	v_sub_f32_e32 v25, v58, v21
	v_fmamk_f32 v0, v2, 0x3f5db3d7, v16
	v_fmac_f32_e32 v16, 0xbf5db3d7, v2
	v_fma_f32 v3, -0.5, v9, v88
	v_fma_f32 v2, -0.5, v22, v12
	v_add_f32_e32 v12, v27, v29
	v_dual_add_f32 v32, v4, v30 :: v_dual_add_f32 v9, v26, v28
	s_waitcnt lgkmcnt(0)
	v_dual_add_f32 v13, v13, v21 :: v_dual_add_f32 v34, v91, v4
	v_dual_add_f32 v29, v31, v33 :: v_dual_sub_f32 v4, v4, v30
	v_add_f32_e32 v39, v35, v37
	v_dual_fmamk_f32 v1, v38, 0xbf5db3d7, v17 :: v_dual_sub_f32 v22, v31, v33
	v_dual_fmac_f32 v17, 0x3f5db3d7, v38 :: v_dual_sub_f32 v36, v26, v28
	v_add_f32_e32 v27, v89, v26
	v_add_f32_e32 v31, v11, v31
	v_sub_f32_e32 v38, v35, v37
	v_fma_f32 v26, -0.5, v9, v89
	v_fmamk_f32 v21, v20, 0xbf5db3d7, v3
	v_dual_fmac_f32 v3, 0x3f5db3d7, v20 :: v_dual_fmamk_f32 v20, v25, 0x3f5db3d7, v2
	v_dual_fmac_f32 v2, 0xbf5db3d7, v25 :: v_dual_add_f32 v35, v10, v35
	v_add_f32_e32 v28, v27, v28
	v_fma_f32 v25, -0.5, v29, v11
	v_fma_f32 v11, -0.5, v32, v91
	v_add_f32_e32 v30, v34, v30
	v_fma_f32 v10, -0.5, v39, v10
	v_add_f32_e32 v29, v35, v37
	s_delay_alu instid0(VALU_DEP_4) | instskip(SKIP_1) | instid1(VALU_DEP_4)
	v_dual_add_f32 v27, v31, v33 :: v_dual_fmamk_f32 v34, v38, 0xbf5db3d7, v11
	v_fmac_f32_e32 v11, 0x3f5db3d7, v38
	v_fmamk_f32 v33, v4, 0x3f5db3d7, v10
	v_fmac_f32_e32 v10, 0xbf5db3d7, v4
	v_fmamk_f32 v32, v22, 0xbf5db3d7, v26
	v_dual_fmac_f32 v26, 0x3f5db3d7, v22 :: v_dual_fmamk_f32 v31, v36, 0x3f5db3d7, v25
	v_fmac_f32_e32 v25, 0xbf5db3d7, v36
	v_add_co_ci_u32_e32 v76, vcc_lo, v86, v76, vcc_lo
	s_clause 0xe
	global_store_b64 v[65:66], v[29:30], off
	global_store_b64 v[23:24], v[10:11], off
	;; [unrolled: 1-line block ×15, first 2 shown]
.LBB0_15:
	s_nop 0
	s_sendmsg sendmsg(MSG_DEALLOC_VGPRS)
	s_endpgm
	.section	.rodata,"a",@progbits
	.p2align	6, 0x0
	.amdhsa_kernel fft_rtc_back_len2025_factors_3_3_5_5_3_3_wgs_135_tpt_135_halfLds_sp_ip_CI_sbrr_dirReg
		.amdhsa_group_segment_fixed_size 0
		.amdhsa_private_segment_fixed_size 0
		.amdhsa_kernarg_size 88
		.amdhsa_user_sgpr_count 15
		.amdhsa_user_sgpr_dispatch_ptr 0
		.amdhsa_user_sgpr_queue_ptr 0
		.amdhsa_user_sgpr_kernarg_segment_ptr 1
		.amdhsa_user_sgpr_dispatch_id 0
		.amdhsa_user_sgpr_private_segment_size 0
		.amdhsa_wavefront_size32 1
		.amdhsa_uses_dynamic_stack 0
		.amdhsa_enable_private_segment 0
		.amdhsa_system_sgpr_workgroup_id_x 1
		.amdhsa_system_sgpr_workgroup_id_y 0
		.amdhsa_system_sgpr_workgroup_id_z 0
		.amdhsa_system_sgpr_workgroup_info 0
		.amdhsa_system_vgpr_workitem_id 0
		.amdhsa_next_free_vgpr 126
		.amdhsa_next_free_sgpr 23
		.amdhsa_reserve_vcc 1
		.amdhsa_float_round_mode_32 0
		.amdhsa_float_round_mode_16_64 0
		.amdhsa_float_denorm_mode_32 3
		.amdhsa_float_denorm_mode_16_64 3
		.amdhsa_dx10_clamp 1
		.amdhsa_ieee_mode 1
		.amdhsa_fp16_overflow 0
		.amdhsa_workgroup_processor_mode 1
		.amdhsa_memory_ordered 1
		.amdhsa_forward_progress 0
		.amdhsa_shared_vgpr_count 0
		.amdhsa_exception_fp_ieee_invalid_op 0
		.amdhsa_exception_fp_denorm_src 0
		.amdhsa_exception_fp_ieee_div_zero 0
		.amdhsa_exception_fp_ieee_overflow 0
		.amdhsa_exception_fp_ieee_underflow 0
		.amdhsa_exception_fp_ieee_inexact 0
		.amdhsa_exception_int_div_zero 0
	.end_amdhsa_kernel
	.text
.Lfunc_end0:
	.size	fft_rtc_back_len2025_factors_3_3_5_5_3_3_wgs_135_tpt_135_halfLds_sp_ip_CI_sbrr_dirReg, .Lfunc_end0-fft_rtc_back_len2025_factors_3_3_5_5_3_3_wgs_135_tpt_135_halfLds_sp_ip_CI_sbrr_dirReg
                                        ; -- End function
	.section	.AMDGPU.csdata,"",@progbits
; Kernel info:
; codeLenInByte = 11792
; NumSgprs: 25
; NumVgprs: 126
; ScratchSize: 0
; MemoryBound: 0
; FloatMode: 240
; IeeeMode: 1
; LDSByteSize: 0 bytes/workgroup (compile time only)
; SGPRBlocks: 3
; VGPRBlocks: 15
; NumSGPRsForWavesPerEU: 25
; NumVGPRsForWavesPerEU: 126
; Occupancy: 10
; WaveLimiterHint : 1
; COMPUTE_PGM_RSRC2:SCRATCH_EN: 0
; COMPUTE_PGM_RSRC2:USER_SGPR: 15
; COMPUTE_PGM_RSRC2:TRAP_HANDLER: 0
; COMPUTE_PGM_RSRC2:TGID_X_EN: 1
; COMPUTE_PGM_RSRC2:TGID_Y_EN: 0
; COMPUTE_PGM_RSRC2:TGID_Z_EN: 0
; COMPUTE_PGM_RSRC2:TIDIG_COMP_CNT: 0
	.text
	.p2alignl 7, 3214868480
	.fill 96, 4, 3214868480
	.type	__hip_cuid_342f69ce7b6c58be,@object ; @__hip_cuid_342f69ce7b6c58be
	.section	.bss,"aw",@nobits
	.globl	__hip_cuid_342f69ce7b6c58be
__hip_cuid_342f69ce7b6c58be:
	.byte	0                               ; 0x0
	.size	__hip_cuid_342f69ce7b6c58be, 1

	.ident	"AMD clang version 19.0.0git (https://github.com/RadeonOpenCompute/llvm-project roc-6.4.0 25133 c7fe45cf4b819c5991fe208aaa96edf142730f1d)"
	.section	".note.GNU-stack","",@progbits
	.addrsig
	.addrsig_sym __hip_cuid_342f69ce7b6c58be
	.amdgpu_metadata
---
amdhsa.kernels:
  - .args:
      - .actual_access:  read_only
        .address_space:  global
        .offset:         0
        .size:           8
        .value_kind:     global_buffer
      - .offset:         8
        .size:           8
        .value_kind:     by_value
      - .actual_access:  read_only
        .address_space:  global
        .offset:         16
        .size:           8
        .value_kind:     global_buffer
      - .actual_access:  read_only
        .address_space:  global
        .offset:         24
        .size:           8
        .value_kind:     global_buffer
      - .offset:         32
        .size:           8
        .value_kind:     by_value
      - .actual_access:  read_only
        .address_space:  global
        .offset:         40
        .size:           8
        .value_kind:     global_buffer
      - .actual_access:  read_only
        .address_space:  global
        .offset:         48
        .size:           8
        .value_kind:     global_buffer
      - .offset:         56
        .size:           4
        .value_kind:     by_value
      - .actual_access:  read_only
        .address_space:  global
        .offset:         64
        .size:           8
        .value_kind:     global_buffer
      - .actual_access:  read_only
        .address_space:  global
        .offset:         72
        .size:           8
        .value_kind:     global_buffer
      - .address_space:  global
        .offset:         80
        .size:           8
        .value_kind:     global_buffer
    .group_segment_fixed_size: 0
    .kernarg_segment_align: 8
    .kernarg_segment_size: 88
    .language:       OpenCL C
    .language_version:
      - 2
      - 0
    .max_flat_workgroup_size: 135
    .name:           fft_rtc_back_len2025_factors_3_3_5_5_3_3_wgs_135_tpt_135_halfLds_sp_ip_CI_sbrr_dirReg
    .private_segment_fixed_size: 0
    .sgpr_count:     25
    .sgpr_spill_count: 0
    .symbol:         fft_rtc_back_len2025_factors_3_3_5_5_3_3_wgs_135_tpt_135_halfLds_sp_ip_CI_sbrr_dirReg.kd
    .uniform_work_group_size: 1
    .uses_dynamic_stack: false
    .vgpr_count:     126
    .vgpr_spill_count: 0
    .wavefront_size: 32
    .workgroup_processor_mode: 1
amdhsa.target:   amdgcn-amd-amdhsa--gfx1100
amdhsa.version:
  - 1
  - 2
...

	.end_amdgpu_metadata
